;; amdgpu-corpus repo=ROCm/rocFFT kind=compiled arch=gfx1030 opt=O3
	.text
	.amdgcn_target "amdgcn-amd-amdhsa--gfx1030"
	.amdhsa_code_object_version 6
	.protected	fft_rtc_back_len3750_factors_3_5_5_10_5_wgs_125_tpt_125_halfLds_sp_op_CI_CI_sbrr_dirReg ; -- Begin function fft_rtc_back_len3750_factors_3_5_5_10_5_wgs_125_tpt_125_halfLds_sp_op_CI_CI_sbrr_dirReg
	.globl	fft_rtc_back_len3750_factors_3_5_5_10_5_wgs_125_tpt_125_halfLds_sp_op_CI_CI_sbrr_dirReg
	.p2align	8
	.type	fft_rtc_back_len3750_factors_3_5_5_10_5_wgs_125_tpt_125_halfLds_sp_op_CI_CI_sbrr_dirReg,@function
fft_rtc_back_len3750_factors_3_5_5_10_5_wgs_125_tpt_125_halfLds_sp_op_CI_CI_sbrr_dirReg: ; @fft_rtc_back_len3750_factors_3_5_5_10_5_wgs_125_tpt_125_halfLds_sp_op_CI_CI_sbrr_dirReg
; %bb.0:
	s_clause 0x2
	s_load_dwordx4 s[16:19], s[4:5], 0x18
	s_load_dwordx4 s[12:15], s[4:5], 0x0
	;; [unrolled: 1-line block ×3, first 2 shown]
	v_mul_u32_u24_e32 v2, 0x20d, v0
	v_mov_b32_e32 v1, 0
	v_mov_b32_e32 v8, 0
	;; [unrolled: 1-line block ×3, first 2 shown]
	s_waitcnt lgkmcnt(0)
	s_load_dwordx2 s[20:21], s[16:17], 0x0
	s_load_dwordx2 s[2:3], s[18:19], 0x0
	v_cmp_lt_u64_e64 s0, s[14:15], 2
	v_add_nc_u32_sdwa v3, s6, v2 dst_sel:DWORD dst_unused:UNUSED_PAD src0_sel:DWORD src1_sel:WORD_1
	v_mov_b32_e32 v4, v1
	s_and_b32 vcc_lo, exec_lo, s0
	s_cbranch_vccnz .LBB0_8
; %bb.1:
	s_load_dwordx2 s[0:1], s[4:5], 0x10
	v_mov_b32_e32 v8, 0
	v_mov_b32_e32 v9, 0
	s_add_u32 s6, s18, 8
	s_addc_u32 s7, s19, 0
	s_add_u32 s22, s16, 8
	s_addc_u32 s23, s17, 0
	v_mov_b32_e32 v45, v9
	v_mov_b32_e32 v44, v8
	s_mov_b64 s[26:27], 1
	s_waitcnt lgkmcnt(0)
	s_add_u32 s24, s0, 8
	s_addc_u32 s25, s1, 0
.LBB0_2:                                ; =>This Inner Loop Header: Depth=1
	s_load_dwordx2 s[28:29], s[24:25], 0x0
                                        ; implicit-def: $vgpr46_vgpr47
	s_mov_b32 s0, exec_lo
	s_waitcnt lgkmcnt(0)
	v_or_b32_e32 v2, s29, v4
	v_cmpx_ne_u64_e32 0, v[1:2]
	s_xor_b32 s1, exec_lo, s0
	s_cbranch_execz .LBB0_4
; %bb.3:                                ;   in Loop: Header=BB0_2 Depth=1
	v_cvt_f32_u32_e32 v2, s28
	v_cvt_f32_u32_e32 v5, s29
	s_sub_u32 s0, 0, s28
	s_subb_u32 s30, 0, s29
	v_fmac_f32_e32 v2, 0x4f800000, v5
	v_rcp_f32_e32 v2, v2
	v_mul_f32_e32 v2, 0x5f7ffffc, v2
	v_mul_f32_e32 v5, 0x2f800000, v2
	v_trunc_f32_e32 v5, v5
	v_fmac_f32_e32 v2, 0xcf800000, v5
	v_cvt_u32_f32_e32 v5, v5
	v_cvt_u32_f32_e32 v2, v2
	v_mul_lo_u32 v6, s0, v5
	v_mul_hi_u32 v7, s0, v2
	v_mul_lo_u32 v10, s30, v2
	v_add_nc_u32_e32 v6, v7, v6
	v_mul_lo_u32 v7, s0, v2
	v_add_nc_u32_e32 v6, v6, v10
	v_mul_hi_u32 v10, v2, v7
	v_mul_lo_u32 v11, v2, v6
	v_mul_hi_u32 v12, v2, v6
	v_mul_hi_u32 v13, v5, v7
	v_mul_lo_u32 v7, v5, v7
	v_mul_hi_u32 v14, v5, v6
	v_mul_lo_u32 v6, v5, v6
	v_add_co_u32 v10, vcc_lo, v10, v11
	v_add_co_ci_u32_e32 v11, vcc_lo, 0, v12, vcc_lo
	v_add_co_u32 v7, vcc_lo, v10, v7
	v_add_co_ci_u32_e32 v7, vcc_lo, v11, v13, vcc_lo
	v_add_co_ci_u32_e32 v10, vcc_lo, 0, v14, vcc_lo
	v_add_co_u32 v6, vcc_lo, v7, v6
	v_add_co_ci_u32_e32 v7, vcc_lo, 0, v10, vcc_lo
	v_add_co_u32 v2, vcc_lo, v2, v6
	v_add_co_ci_u32_e32 v5, vcc_lo, v5, v7, vcc_lo
	v_mul_hi_u32 v6, s0, v2
	v_mul_lo_u32 v10, s30, v2
	v_mul_lo_u32 v7, s0, v5
	v_add_nc_u32_e32 v6, v6, v7
	v_mul_lo_u32 v7, s0, v2
	v_add_nc_u32_e32 v6, v6, v10
	v_mul_hi_u32 v10, v2, v7
	v_mul_lo_u32 v11, v2, v6
	v_mul_hi_u32 v12, v2, v6
	v_mul_hi_u32 v13, v5, v7
	v_mul_lo_u32 v7, v5, v7
	v_mul_hi_u32 v14, v5, v6
	v_mul_lo_u32 v6, v5, v6
	v_add_co_u32 v10, vcc_lo, v10, v11
	v_add_co_ci_u32_e32 v11, vcc_lo, 0, v12, vcc_lo
	v_add_co_u32 v7, vcc_lo, v10, v7
	v_add_co_ci_u32_e32 v7, vcc_lo, v11, v13, vcc_lo
	v_add_co_ci_u32_e32 v10, vcc_lo, 0, v14, vcc_lo
	v_add_co_u32 v6, vcc_lo, v7, v6
	v_add_co_ci_u32_e32 v7, vcc_lo, 0, v10, vcc_lo
	v_add_co_u32 v2, vcc_lo, v2, v6
	v_add_co_ci_u32_e32 v7, vcc_lo, v5, v7, vcc_lo
	v_mul_hi_u32 v14, v3, v2
	v_mad_u64_u32 v[10:11], null, v4, v2, 0
	v_mad_u64_u32 v[5:6], null, v3, v7, 0
	v_mad_u64_u32 v[12:13], null, v4, v7, 0
	v_add_co_u32 v2, vcc_lo, v14, v5
	v_add_co_ci_u32_e32 v5, vcc_lo, 0, v6, vcc_lo
	v_add_co_u32 v2, vcc_lo, v2, v10
	v_add_co_ci_u32_e32 v2, vcc_lo, v5, v11, vcc_lo
	v_add_co_ci_u32_e32 v5, vcc_lo, 0, v13, vcc_lo
	v_add_co_u32 v2, vcc_lo, v2, v12
	v_add_co_ci_u32_e32 v7, vcc_lo, 0, v5, vcc_lo
	v_mul_lo_u32 v10, s29, v2
	v_mad_u64_u32 v[5:6], null, s28, v2, 0
	v_mul_lo_u32 v11, s28, v7
	v_sub_co_u32 v5, vcc_lo, v3, v5
	v_add3_u32 v6, v6, v11, v10
	v_sub_nc_u32_e32 v10, v4, v6
	v_subrev_co_ci_u32_e64 v10, s0, s29, v10, vcc_lo
	v_add_co_u32 v11, s0, v2, 2
	v_add_co_ci_u32_e64 v12, s0, 0, v7, s0
	v_sub_co_u32 v13, s0, v5, s28
	v_sub_co_ci_u32_e32 v6, vcc_lo, v4, v6, vcc_lo
	v_subrev_co_ci_u32_e64 v10, s0, 0, v10, s0
	v_cmp_le_u32_e32 vcc_lo, s28, v13
	v_cmp_eq_u32_e64 s0, s29, v6
	v_cndmask_b32_e64 v13, 0, -1, vcc_lo
	v_cmp_le_u32_e32 vcc_lo, s29, v10
	v_cndmask_b32_e64 v14, 0, -1, vcc_lo
	v_cmp_le_u32_e32 vcc_lo, s28, v5
	;; [unrolled: 2-line block ×3, first 2 shown]
	v_cndmask_b32_e64 v15, 0, -1, vcc_lo
	v_cmp_eq_u32_e32 vcc_lo, s29, v10
	v_cndmask_b32_e64 v5, v15, v5, s0
	v_cndmask_b32_e32 v10, v14, v13, vcc_lo
	v_add_co_u32 v13, vcc_lo, v2, 1
	v_add_co_ci_u32_e32 v14, vcc_lo, 0, v7, vcc_lo
	v_cmp_ne_u32_e32 vcc_lo, 0, v10
	v_cndmask_b32_e32 v6, v14, v12, vcc_lo
	v_cndmask_b32_e32 v10, v13, v11, vcc_lo
	v_cmp_ne_u32_e32 vcc_lo, 0, v5
	v_cndmask_b32_e32 v47, v7, v6, vcc_lo
	v_cndmask_b32_e32 v46, v2, v10, vcc_lo
.LBB0_4:                                ;   in Loop: Header=BB0_2 Depth=1
	s_andn2_saveexec_b32 s0, s1
	s_cbranch_execz .LBB0_6
; %bb.5:                                ;   in Loop: Header=BB0_2 Depth=1
	v_cvt_f32_u32_e32 v2, s28
	s_sub_i32 s1, 0, s28
	v_mov_b32_e32 v47, v1
	v_rcp_iflag_f32_e32 v2, v2
	v_mul_f32_e32 v2, 0x4f7ffffe, v2
	v_cvt_u32_f32_e32 v2, v2
	v_mul_lo_u32 v5, s1, v2
	v_mul_hi_u32 v5, v2, v5
	v_add_nc_u32_e32 v2, v2, v5
	v_mul_hi_u32 v2, v3, v2
	v_mul_lo_u32 v5, v2, s28
	v_add_nc_u32_e32 v6, 1, v2
	v_sub_nc_u32_e32 v5, v3, v5
	v_subrev_nc_u32_e32 v7, s28, v5
	v_cmp_le_u32_e32 vcc_lo, s28, v5
	v_cndmask_b32_e32 v5, v5, v7, vcc_lo
	v_cndmask_b32_e32 v2, v2, v6, vcc_lo
	v_cmp_le_u32_e32 vcc_lo, s28, v5
	v_add_nc_u32_e32 v6, 1, v2
	v_cndmask_b32_e32 v46, v2, v6, vcc_lo
.LBB0_6:                                ;   in Loop: Header=BB0_2 Depth=1
	s_or_b32 exec_lo, exec_lo, s0
	v_mul_lo_u32 v2, v47, s28
	v_mul_lo_u32 v7, v46, s29
	s_load_dwordx2 s[0:1], s[22:23], 0x0
	v_mad_u64_u32 v[5:6], null, v46, s28, 0
	s_load_dwordx2 s[28:29], s[6:7], 0x0
	s_add_u32 s26, s26, 1
	s_addc_u32 s27, s27, 0
	s_add_u32 s6, s6, 8
	s_addc_u32 s7, s7, 0
	s_add_u32 s22, s22, 8
	v_add3_u32 v2, v6, v7, v2
	v_sub_co_u32 v3, vcc_lo, v3, v5
	s_addc_u32 s23, s23, 0
	s_add_u32 s24, s24, 8
	v_sub_co_ci_u32_e32 v2, vcc_lo, v4, v2, vcc_lo
	s_addc_u32 s25, s25, 0
	s_waitcnt lgkmcnt(0)
	v_mul_lo_u32 v4, s0, v2
	v_mul_lo_u32 v5, s1, v3
	v_mad_u64_u32 v[8:9], null, s0, v3, v[8:9]
	v_mul_lo_u32 v2, s28, v2
	v_mul_lo_u32 v6, s29, v3
	v_mad_u64_u32 v[44:45], null, s28, v3, v[44:45]
	v_cmp_ge_u64_e64 s0, s[26:27], s[14:15]
	v_add3_u32 v9, v5, v9, v4
	v_add3_u32 v45, v6, v45, v2
	s_and_b32 vcc_lo, exec_lo, s0
	s_cbranch_vccnz .LBB0_9
; %bb.7:                                ;   in Loop: Header=BB0_2 Depth=1
	v_mov_b32_e32 v3, v46
	v_mov_b32_e32 v4, v47
	s_branch .LBB0_2
.LBB0_8:
	v_mov_b32_e32 v45, v9
	v_mov_b32_e32 v47, v4
	;; [unrolled: 1-line block ×4, first 2 shown]
.LBB0_9:
	s_load_dwordx2 s[0:1], s[4:5], 0x28
	v_mul_hi_u32 v2, 0x20c49bb, v0
	s_lshl_b64 s[6:7], s[14:15], 3
                                        ; implicit-def: $vgpr83
                                        ; implicit-def: $vgpr84
                                        ; implicit-def: $vgpr85
                                        ; implicit-def: $vgpr86
                                        ; implicit-def: $vgpr87
                                        ; implicit-def: $vgpr90
                                        ; implicit-def: $vgpr66
                                        ; implicit-def: $vgpr43
	s_add_u32 s4, s18, s6
	s_addc_u32 s5, s19, s7
	s_waitcnt lgkmcnt(0)
	v_cmp_gt_u64_e32 vcc_lo, s[0:1], v[46:47]
	v_cmp_le_u64_e64 s0, s[0:1], v[46:47]
	s_and_saveexec_b32 s1, s0
	s_xor_b32 s0, exec_lo, s1
; %bb.10:
	v_mul_u32_u24_e32 v1, 0x7d, v2
                                        ; implicit-def: $vgpr2
                                        ; implicit-def: $vgpr8_vgpr9
	v_sub_nc_u32_e32 v83, v0, v1
                                        ; implicit-def: $vgpr0
	v_add_nc_u32_e32 v84, 0x7d, v83
	v_add_nc_u32_e32 v85, 0xfa, v83
	;; [unrolled: 1-line block ×7, first 2 shown]
; %bb.11:
	s_or_saveexec_b32 s1, s0
                                        ; implicit-def: $vgpr5
                                        ; implicit-def: $vgpr7
                                        ; implicit-def: $vgpr1
                                        ; implicit-def: $vgpr14
                                        ; implicit-def: $vgpr16
                                        ; implicit-def: $vgpr3
                                        ; implicit-def: $vgpr30
                                        ; implicit-def: $vgpr32
                                        ; implicit-def: $vgpr10
                                        ; implicit-def: $vgpr34
                                        ; implicit-def: $vgpr36
                                        ; implicit-def: $vgpr12
                                        ; implicit-def: $vgpr38
                                        ; implicit-def: $vgpr40
                                        ; implicit-def: $vgpr18
                                        ; implicit-def: $vgpr42
                                        ; implicit-def: $vgpr49
                                        ; implicit-def: $vgpr20
                                        ; implicit-def: $vgpr51
                                        ; implicit-def: $vgpr53
                                        ; implicit-def: $vgpr22
                                        ; implicit-def: $vgpr55
                                        ; implicit-def: $vgpr57
                                        ; implicit-def: $vgpr24
                                        ; implicit-def: $vgpr61
                                        ; implicit-def: $vgpr59
                                        ; implicit-def: $vgpr26
                                        ; implicit-def: $vgpr65
                                        ; implicit-def: $vgpr63
                                        ; implicit-def: $vgpr28
	s_xor_b32 exec_lo, exec_lo, s1
	s_cbranch_execz .LBB0_13
; %bb.12:
	s_add_u32 s6, s16, s6
	s_addc_u32 s7, s17, s7
	v_mul_u32_u24_e32 v1, 0x7d, v2
	s_load_dwordx2 s[6:7], s[6:7], 0x0
	v_lshlrev_b64 v[2:3], 3, v[8:9]
	v_sub_nc_u32_e32 v83, v0, v1
	v_add_nc_u32_e32 v13, 0x4e2, v83
	v_mad_u64_u32 v[0:1], null, s20, v83, 0
	v_add_nc_u32_e32 v16, 0x9c4, v83
	v_add_nc_u32_e32 v84, 0x7d, v83
	v_mad_u64_u32 v[4:5], null, s20, v13, 0
	v_add_nc_u32_e32 v18, 0x55f, v83
	v_mad_u64_u32 v[6:7], null, s20, v16, 0
	v_mad_u64_u32 v[10:11], null, s21, v83, v[1:2]
	s_waitcnt lgkmcnt(0)
	v_mul_lo_u32 v14, s7, v46
	v_mul_lo_u32 v15, s6, v47
	v_mad_u64_u32 v[8:9], null, s6, v46, 0
	v_mov_b32_e32 v1, v5
	v_mad_u64_u32 v[11:12], null, s20, v84, 0
	v_mov_b32_e32 v5, v7
	v_add_nc_u32_e32 v85, 0xfa, v83
	v_add_nc_u32_e32 v22, 0x5dc, v83
	v_add3_u32 v9, v9, v15, v14
	v_mad_u64_u32 v[13:14], null, s21, v13, v[1:2]
	v_mov_b32_e32 v1, v10
	v_mad_u64_u32 v[14:15], null, s20, v18, 0
	v_lshlrev_b64 v[7:8], 3, v[8:9]
	v_mad_u64_u32 v[9:10], null, s21, v16, v[5:6]
	v_mov_b32_e32 v10, v12
	v_mov_b32_e32 v5, v13
	v_lshlrev_b64 v[0:1], 3, v[0:1]
	v_add_co_u32 v12, s0, s8, v7
	v_add_co_ci_u32_e64 v13, s0, s9, v8, s0
	v_mov_b32_e32 v7, v9
	v_add_co_u32 v8, s0, v12, v2
	v_add_co_ci_u32_e64 v9, s0, v13, v3, s0
	v_lshlrev_b64 v[2:3], 3, v[4:5]
	v_mad_u64_u32 v[4:5], null, s21, v84, v[10:11]
	v_add_nc_u32_e32 v13, 0xa41, v83
	v_add_co_u32 v0, s0, v8, v0
	v_lshlrev_b64 v[5:6], 3, v[6:7]
	v_add_co_ci_u32_e64 v1, s0, v9, v1, s0
	v_add_co_u32 v2, s0, v8, v2
	v_mov_b32_e32 v7, v15
	v_mov_b32_e32 v12, v4
	v_mad_u64_u32 v[16:17], null, s20, v13, 0
	v_add_co_ci_u32_e64 v3, s0, v9, v3, s0
	v_add_co_u32 v4, s0, v8, v5
	v_mad_u64_u32 v[18:19], null, s21, v18, v[7:8]
	v_add_co_ci_u32_e64 v5, s0, v9, v6, s0
	v_lshlrev_b64 v[6:7], 3, v[11:12]
	v_mad_u64_u32 v[11:12], null, s20, v85, 0
	v_mov_b32_e32 v10, v17
	v_mov_b32_e32 v15, v18
	v_add_nc_u32_e32 v24, 0xabe, v83
	v_add_co_u32 v6, s0, v8, v6
	v_add_nc_u32_e32 v86, 0x177, v83
	v_mad_u64_u32 v[17:18], null, s21, v13, v[10:11]
	v_mov_b32_e32 v10, v12
	v_mad_u64_u32 v[18:19], null, s20, v22, 0
	v_lshlrev_b64 v[13:14], 3, v[14:15]
	v_add_co_ci_u32_e64 v7, s0, v9, v7, s0
	v_mad_u64_u32 v[20:21], null, s21, v85, v[10:11]
	v_add_nc_u32_e32 v28, 0x659, v83
	v_mov_b32_e32 v10, v19
	v_add_co_u32 v13, s0, v8, v13
	v_add_nc_u32_e32 v30, 0xb3b, v83
	v_lshlrev_b64 v[15:16], 3, v[16:17]
	v_mov_b32_e32 v12, v20
	v_mad_u64_u32 v[20:21], null, s20, v24, 0
	v_mad_u64_u32 v[22:23], null, s21, v22, v[10:11]
	v_lshlrev_b64 v[10:11], 3, v[11:12]
	v_add_nc_u32_e32 v87, 0x1f4, v83
	v_add_co_ci_u32_e64 v14, s0, v9, v14, s0
	v_mov_b32_e32 v12, v21
	v_add_co_u32 v15, s0, v8, v15
	v_mov_b32_e32 v19, v22
	v_mad_u64_u32 v[22:23], null, s20, v86, 0
	v_mad_u64_u32 v[24:25], null, s21, v24, v[12:13]
	v_lshlrev_b64 v[17:18], 3, v[18:19]
	v_add_co_ci_u32_e64 v16, s0, v9, v16, s0
	v_add_co_u32 v10, s0, v8, v10
	v_mov_b32_e32 v12, v23
	v_mov_b32_e32 v21, v24
	v_mad_u64_u32 v[24:25], null, s20, v28, 0
	v_add_co_ci_u32_e64 v11, s0, v9, v11, s0
	v_mad_u64_u32 v[26:27], null, s21, v86, v[12:13]
	v_lshlrev_b64 v[19:20], 3, v[20:21]
	v_add_co_u32 v17, s0, v8, v17
	v_mov_b32_e32 v12, v25
	v_add_nc_u32_e32 v35, 0x6d6, v83
	v_add_co_ci_u32_e64 v18, s0, v9, v18, s0
	v_mov_b32_e32 v23, v26
	v_mad_u64_u32 v[26:27], null, s20, v30, 0
	v_mad_u64_u32 v[28:29], null, s21, v28, v[12:13]
	v_lshlrev_b64 v[21:22], 3, v[22:23]
	v_add_co_u32 v19, s0, v8, v19
	v_add_co_ci_u32_e64 v20, s0, v9, v20, s0
	v_mov_b32_e32 v12, v27
	v_mov_b32_e32 v25, v28
	v_mad_u64_u32 v[28:29], null, s20, v87, 0
	v_add_co_u32 v21, s0, v8, v21
	v_mad_u64_u32 v[30:31], null, s21, v30, v[12:13]
	v_lshlrev_b64 v[23:24], 3, v[24:25]
	v_add_nc_u32_e32 v37, 0xbb8, v83
	v_mov_b32_e32 v12, v29
	v_add_co_ci_u32_e64 v22, s0, v9, v22, s0
	v_add_nc_u32_e32 v90, 0x271, v83
	v_mov_b32_e32 v27, v30
	v_mad_u64_u32 v[30:31], null, s20, v35, 0
	v_mad_u64_u32 v[32:33], null, s21, v87, v[12:13]
	v_add_co_u32 v33, s0, v8, v23
	v_add_co_ci_u32_e64 v34, s0, v9, v24, s0
	v_lshlrev_b64 v[23:24], 3, v[26:27]
	v_mad_u64_u32 v[25:26], null, s20, v37, 0
	v_mov_b32_e32 v12, v31
	v_mov_b32_e32 v29, v32
	v_add_nc_u32_e32 v43, 0x753, v83
	v_add_nc_u32_e32 v48, 0xc35, v83
	;; [unrolled: 1-line block ×3, first 2 shown]
	v_mad_u64_u32 v[31:32], null, s21, v35, v[12:13]
	v_mov_b32_e32 v12, v26
	v_add_co_u32 v35, s0, v8, v23
	v_add_co_ci_u32_e64 v36, s0, v9, v24, s0
	v_mad_u64_u32 v[26:27], null, s21, v37, v[12:13]
	v_lshlrev_b64 v[23:24], 3, v[28:29]
	v_mad_u64_u32 v[27:28], null, s20, v90, 0
	v_mad_u64_u32 v[39:40], null, s20, v48, 0
	v_add_nc_u32_e32 v51, 0xcb2, v83
	v_add_co_u32 v37, s0, v8, v23
	v_add_co_ci_u32_e64 v38, s0, v9, v24, s0
	v_mov_b32_e32 v12, v28
	v_lshlrev_b64 v[23:24], 3, v[30:31]
	v_mad_u64_u32 v[29:30], null, s20, v43, 0
	v_add_nc_u32_e32 v52, 0x36b, v83
	v_mad_u64_u32 v[31:32], null, s21, v90, v[12:13]
	v_add_co_u32 v41, s0, v8, v23
	v_add_co_ci_u32_e64 v42, s0, v9, v24, s0
	v_mov_b32_e32 v12, v30
	v_lshlrev_b64 v[23:24], 3, v[25:26]
	v_mov_b32_e32 v28, v31
	v_mov_b32_e32 v25, v40
	v_add_nc_u32_e32 v57, 0xe29, v83
	v_mad_u64_u32 v[30:31], null, s21, v43, v[12:13]
	v_lshlrev_b64 v[26:27], 3, v[27:28]
	v_add_co_u32 v67, s0, v8, v23
	v_add_nc_u32_e32 v43, 0x7d0, v83
	v_add_co_ci_u32_e64 v68, s0, v9, v24, s0
	v_mad_u64_u32 v[31:32], null, s21, v48, v[25:26]
	v_mad_u64_u32 v[23:24], null, s20, v66, 0
	v_add_co_u32 v69, s0, v8, v26
	v_lshlrev_b64 v[25:26], 3, v[29:30]
	v_mad_u64_u32 v[29:30], null, s20, v51, 0
	v_mov_b32_e32 v40, v31
	v_mad_u64_u32 v[31:32], null, s20, v43, 0
	v_mov_b32_e32 v12, v24
	v_add_co_ci_u32_e64 v70, s0, v9, v27, s0
	v_lshlrev_b64 v[27:28], 3, v[39:40]
	v_add_co_u32 v71, s0, v8, v25
	v_mov_b32_e32 v24, v32
	v_mad_u64_u32 v[39:40], null, s21, v66, v[12:13]
	v_mov_b32_e32 v12, v30
	v_add_co_ci_u32_e64 v72, s0, v9, v26, s0
	v_mad_u64_u32 v[48:49], null, s21, v43, v[24:25]
	v_mad_u64_u32 v[49:50], null, s20, v52, 0
	v_mov_b32_e32 v24, v39
	v_mad_u64_u32 v[25:26], null, s21, v51, v[12:13]
	v_add_co_u32 v73, s0, v8, v27
	v_lshlrev_b64 v[23:24], 3, v[23:24]
	v_mov_b32_e32 v12, v50
	v_mov_b32_e32 v32, v48
	v_add_nc_u32_e32 v43, 0x84d, v83
	v_mov_b32_e32 v30, v25
	v_add_co_ci_u32_e64 v74, s0, v9, v28, s0
	v_mad_u64_u32 v[26:27], null, s21, v52, v[12:13]
	v_lshlrev_b64 v[27:28], 3, v[31:32]
	v_add_co_u32 v31, s0, v8, v23
	v_add_co_ci_u32_e64 v32, s0, v9, v24, s0
	v_lshlrev_b64 v[23:24], 3, v[29:30]
	v_mad_u64_u32 v[29:30], null, s20, v43, 0
	v_add_nc_u32_e32 v51, 0xd2f, v83
	v_mov_b32_e32 v50, v26
	v_add_nc_u32_e32 v52, 0x3e8, v83
	v_add_co_u32 v75, s0, v8, v27
	v_mad_u64_u32 v[39:40], null, s20, v51, 0
	v_mov_b32_e32 v12, v30
	v_lshlrev_b64 v[25:26], 3, v[49:50]
	v_add_co_ci_u32_e64 v76, s0, v9, v28, s0
	v_add_co_u32 v77, s0, v8, v23
	v_mad_u64_u32 v[48:49], null, s21, v43, v[12:13]
	v_mad_u64_u32 v[49:50], null, s20, v52, 0
	v_mov_b32_e32 v27, v40
	v_add_co_ci_u32_e64 v78, s0, v9, v24, s0
	v_add_co_u32 v79, s0, v8, v25
	v_mad_u64_u32 v[27:28], null, s21, v51, v[27:28]
	v_mov_b32_e32 v30, v48
	v_mov_b32_e32 v12, v50
	v_add_nc_u32_e32 v28, 0x8ca, v83
	v_add_co_ci_u32_e64 v80, s0, v9, v26, s0
	v_lshlrev_b64 v[23:24], 3, v[29:30]
	v_mad_u64_u32 v[25:26], null, s21, v52, v[12:13]
	v_mov_b32_e32 v40, v27
	v_mad_u64_u32 v[26:27], null, s20, v28, 0
	v_add_nc_u32_e32 v48, 0xdac, v83
	v_add_co_u32 v29, s0, v8, v23
	v_add_co_ci_u32_e64 v30, s0, v9, v24, s0
	v_lshlrev_b64 v[23:24], 3, v[39:40]
	v_mad_u64_u32 v[39:40], null, s20, v48, 0
	v_mov_b32_e32 v12, v27
	v_add_nc_u32_e32 v43, 0x465, v83
	v_mov_b32_e32 v50, v25
	v_add_co_u32 v81, s0, v8, v23
	v_mad_u64_u32 v[27:28], null, s21, v28, v[12:13]
	v_mov_b32_e32 v12, v40
	v_mad_u64_u32 v[51:52], null, s20, v43, 0
	v_add_nc_u32_e32 v28, 0x947, v83
	v_add_co_ci_u32_e64 v82, s0, v9, v24, s0
	v_lshlrev_b64 v[23:24], 3, v[49:50]
	v_mad_u64_u32 v[48:49], null, s21, v48, v[12:13]
	v_mad_u64_u32 v[53:54], null, s20, v28, 0
	v_mov_b32_e32 v25, v52
	v_mad_u64_u32 v[55:56], null, s20, v57, 0
	v_add_co_u32 v88, s0, v8, v23
	v_mov_b32_e32 v40, v48
	v_mad_u64_u32 v[49:50], null, s21, v43, v[25:26]
	v_mov_b32_e32 v12, v54
	v_add_co_ci_u32_e64 v89, s0, v9, v24, s0
	v_lshlrev_b64 v[23:24], 3, v[26:27]
	v_lshlrev_b64 v[26:27], 3, v[39:40]
	v_mov_b32_e32 v25, v56
	v_mad_u64_u32 v[39:40], null, s21, v28, v[12:13]
	v_mov_b32_e32 v52, v49
	v_add_co_u32 v91, s0, v8, v23
	v_mad_u64_u32 v[48:49], null, s21, v57, v[25:26]
	v_add_co_ci_u32_e64 v92, s0, v9, v24, s0
	v_lshlrev_b64 v[23:24], 3, v[51:52]
	v_mov_b32_e32 v54, v39
	v_add_co_u32 v93, s0, v8, v26
	v_mov_b32_e32 v56, v48
	v_add_co_ci_u32_e64 v94, s0, v9, v27, s0
	v_lshlrev_b64 v[25:26], 3, v[53:54]
	v_add_co_u32 v95, s0, v8, v23
	v_add_co_ci_u32_e64 v96, s0, v9, v24, s0
	v_lshlrev_b64 v[23:24], 3, v[55:56]
	v_add_co_u32 v97, s0, v8, v25
	v_add_co_ci_u32_e64 v98, s0, v9, v26, s0
	v_add_co_u32 v99, s0, v8, v23
	v_add_co_ci_u32_e64 v100, s0, v9, v24, s0
	s_clause 0x1d
	global_load_dwordx2 v[27:28], v[0:1], off
	global_load_dwordx2 v[62:63], v[2:3], off
	;; [unrolled: 1-line block ×30, first 2 shown]
.LBB0_13:
	s_or_b32 exec_lo, exec_lo, s1
	s_waitcnt vmcnt(28)
	v_add_f32_e32 v8, v62, v27
	v_add_f32_e32 v67, v63, v28
	s_waitcnt vmcnt(25)
	v_add_f32_e32 v70, v58, v25
	v_add_f32_e32 v68, v64, v62
	v_sub_f32_e32 v69, v63, v65
	v_add_f32_e32 v8, v64, v8
	v_add_f32_e32 v71, v65, v67
	v_add_f32_e32 v63, v65, v63
	v_add_f32_e32 v65, v59, v26
	v_sub_f32_e32 v62, v62, v64
	s_waitcnt vmcnt(24)
	v_add_f32_e32 v64, v60, v70
	v_add_f32_e32 v67, v60, v58
	v_sub_f32_e32 v58, v58, v60
	s_waitcnt vmcnt(22)
	v_add_f32_e32 v60, v56, v23
	v_sub_f32_e32 v70, v59, v61
	v_add_f32_e32 v65, v61, v65
	v_add_f32_e32 v59, v61, v59
	s_waitcnt vmcnt(21)
	v_add_f32_e32 v61, v54, v56
	v_add_f32_e32 v72, v57, v24
	v_sub_f32_e32 v56, v56, v54
	v_add_f32_e32 v54, v54, v60
	s_waitcnt vmcnt(19)
	v_add_f32_e32 v60, v52, v21
	v_sub_f32_e32 v73, v57, v55
	v_add_f32_e32 v57, v55, v57
	v_add_f32_e32 v55, v55, v72
	s_waitcnt vmcnt(18)
	v_add_f32_e32 v72, v50, v52
	v_add_f32_e32 v74, v53, v22
	v_sub_f32_e32 v52, v52, v50
	v_add_f32_e32 v50, v50, v60
	;; [unrolled: 10-line block ×3, first 2 shown]
	s_waitcnt vmcnt(13)
	v_add_f32_e32 v60, v39, v17
	v_add_f32_e32 v78, v40, v18
	v_sub_f32_e32 v77, v49, v42
	v_add_f32_e32 v49, v42, v49
	v_add_f32_e32 v42, v42, v76
	s_waitcnt vmcnt(12)
	v_add_f32_e32 v76, v37, v39
	v_sub_f32_e32 v79, v40, v38
	v_add_f32_e32 v80, v38, v40
	v_sub_f32_e32 v81, v39, v37
	v_add_f32_e32 v37, v37, v60
	v_add_f32_e32 v60, v38, v78
	s_waitcnt vmcnt(10)
	v_add_f32_e32 v38, v35, v11
	v_add_f32_e32 v40, v36, v12
	s_waitcnt vmcnt(9)
	v_sub_f32_e32 v78, v36, v34
	v_add_f32_e32 v82, v34, v36
	s_waitcnt vmcnt(7)
	v_add_f32_e32 v36, v32, v10
	v_fmac_f32_e32 v27, -0.5, v68
	v_fmac_f32_e32 v25, -0.5, v67
	v_add_f32_e32 v39, v33, v35
	v_sub_f32_e32 v119, v35, v33
	v_add_f32_e32 v33, v33, v38
	s_waitcnt vmcnt(6)
	v_sub_f32_e32 v38, v32, v30
	v_add_f32_e32 v121, v30, v32
	v_add_f32_e32 v123, v30, v36
	v_fmamk_f32 v30, v69, 0xbf5db3d7, v27
	v_fmac_f32_e32 v27, 0x3f5db3d7, v69
	v_fmac_f32_e32 v23, -0.5, v61
	v_mad_u32_u24 v61, v83, 12, 0
	v_add_f32_e32 v120, v34, v40
	v_add_f32_e32 v34, v31, v9
	v_add_f32_e32 v35, v29, v31
	v_sub_f32_e32 v122, v31, v29
	v_fmamk_f32 v31, v70, 0xbf5db3d7, v25
	v_mad_i32_i24 v89, v84, 12, 0
	v_fmac_f32_e32 v25, 0x3f5db3d7, v70
	s_load_dwordx2 s[4:5], s[4:5], 0x0
	ds_write2_b32 v61, v8, v30 offset1:1
	s_waitcnt vmcnt(3)
	v_add_f32_e32 v30, v13, v15
	ds_write_b32 v61, v27 offset:8
	ds_write2_b32 v89, v64, v31 offset1:1
	v_add_f32_e32 v31, v15, v2
	v_fmac_f32_e32 v21, -0.5, v72
	v_fmamk_f32 v32, v73, 0xbf5db3d7, v23
	v_mad_i32_i24 v91, v85, 12, 0
	v_fmac_f32_e32 v19, -0.5, v74
	v_fmac_f32_e32 v23, 0x3f5db3d7, v73
	v_fmac_f32_e32 v11, -0.5, v39
	v_fmac_f32_e32 v2, -0.5, v30
	ds_write_b32 v89, v25 offset:8
	ds_write2_b32 v91, v54, v32 offset1:1
	v_sub_f32_e32 v25, v16, v14
	v_add_f32_e32 v30, v13, v31
	s_waitcnt vmcnt(0)
	v_add_f32_e32 v31, v4, v6
	v_add_f32_e32 v29, v29, v34
	v_fmac_f32_e32 v17, -0.5, v76
	v_fmamk_f32 v34, v75, 0xbf5db3d7, v21
	v_fmac_f32_e32 v9, -0.5, v35
	v_mad_i32_i24 v92, v86, 12, 0
	v_fmac_f32_e32 v21, 0x3f5db3d7, v75
	v_fmamk_f32 v36, v77, 0xbf5db3d7, v19
	v_fmac_f32_e32 v19, 0x3f5db3d7, v77
	v_fmamk_f32 v8, v78, 0xbf5db3d7, v11
	v_fmac_f32_e32 v11, 0x3f5db3d7, v78
	ds_write_b32 v91, v23 offset:8
	ds_write2_b32 v92, v50, v34 offset1:1
	v_fmamk_f32 v23, v25, 0xbf5db3d7, v2
	v_add_f32_e32 v32, v6, v0
	v_fmac_f32_e32 v2, 0x3f5db3d7, v25
	v_mad_i32_i24 v93, v87, 12, 0
	v_fmac_f32_e32 v0, -0.5, v31
	v_sub_f32_e32 v25, v7, v5
	v_mad_i32_i24 v88, v66, 12, 0
	v_fmac_f32_e32 v28, -0.5, v63
	v_fmamk_f32 v40, v79, 0xbf5db3d7, v17
	v_fmamk_f32 v27, v38, 0xbf5db3d7, v9
	v_mad_i32_i24 v94, v90, 12, 0
	v_add_nc_u32_e32 v50, 0x2904, v61
	v_lshlrev_b32_e32 v109, 3, v85
	v_fmac_f32_e32 v17, 0x3f5db3d7, v79
	v_fmac_f32_e32 v9, 0x3f5db3d7, v38
	v_lshlrev_b32_e32 v110, 3, v86
	v_add_nc_u32_e32 v63, 0x2ee0, v61
	v_lshlrev_b32_e32 v111, 3, v87
	v_lshlrev_b32_e32 v112, 3, v90
	v_add_f32_e32 v31, v4, v32
	ds_write_b32 v92, v21 offset:8
	ds_write2_b32 v93, v41, v36 offset1:1
	v_fmamk_f32 v21, v25, 0xbf5db3d7, v0
	v_fmac_f32_e32 v0, 0x3f5db3d7, v25
	ds_write_b32 v93, v19 offset:8
	ds_write2_b32 v94, v37, v40 offset1:1
	ds_write_b32 v94, v17 offset:8
	ds_write_b32 v88, v11 offset:8
	v_mad_i32_i24 v11, v43, 12, 0
	v_lshlrev_b32_e32 v108, 3, v84
	ds_write2_b32 v88, v33, v8 offset1:1
	ds_write2_b32 v50, v29, v27 offset1:1
	ds_write_b32 v61, v9 offset:10508
	ds_write2_b32 v63, v30, v23 offset1:1
	ds_write_b32 v61, v2 offset:12008
	;; [unrolled: 2-line block ×3, first 2 shown]
	v_lshl_add_u32 v95, v83, 2, 0
	v_lshlrev_b32_e32 v107, 3, v66
	v_sub_nc_u32_e32 v115, v91, v109
	v_fmamk_f32 v0, v62, 0x3f5db3d7, v28
	v_fmac_f32_e32 v26, -0.5, v59
	v_sub_nc_u32_e32 v116, v92, v110
	v_sub_nc_u32_e32 v117, v93, v111
	;; [unrolled: 1-line block ×4, first 2 shown]
	s_waitcnt lgkmcnt(0)
	s_barrier
	buffer_gl0_inv
	ds_read_b32 v25, v95
	v_sub_nc_u32_e32 v113, v88, v107
	v_add_nc_u32_e32 v100, 0x1400, v95
	v_add_nc_u32_e32 v102, 0x2000, v95
	;; [unrolled: 1-line block ×11, first 2 shown]
	ds_read_b32 v23, v115
	ds_read_b32 v21, v116
	;; [unrolled: 1-line block ×6, first 2 shown]
	ds_read_b32 v69, v95 offset:14500
	ds_read2_b32 v[31:32], v100 offset0:95 offset1:220
	ds_read2_b32 v[29:30], v102 offset0:77 offset1:202
	;; [unrolled: 1-line block ×11, first 2 shown]
	s_waitcnt lgkmcnt(0)
	s_barrier
	buffer_gl0_inv
	v_fmac_f32_e32 v28, 0xbf5db3d7, v62
	v_fmac_f32_e32 v24, -0.5, v57
	ds_write2_b32 v61, v71, v0 offset1:1
	v_fmamk_f32 v0, v58, 0x3f5db3d7, v26
	v_fmac_f32_e32 v22, -0.5, v53
	v_fmac_f32_e32 v26, 0xbf5db3d7, v58
	ds_write_b32 v61, v28 offset:8
	v_fmamk_f32 v2, v56, 0x3f5db3d7, v24
	ds_write2_b32 v89, v65, v0 offset1:1
	ds_write_b32 v89, v26 offset:8
	v_fmac_f32_e32 v24, 0xbf5db3d7, v56
	v_fmamk_f32 v0, v52, 0x3f5db3d7, v22
	v_fmac_f32_e32 v20, -0.5, v49
	ds_write2_b32 v91, v55, v2 offset1:1
	v_fmac_f32_e32 v22, 0xbf5db3d7, v52
	ds_write_b32 v91, v24 offset:8
	ds_write2_b32 v92, v51, v0 offset1:1
	v_fmamk_f32 v0, v48, 0x3f5db3d7, v20
	v_fmac_f32_e32 v18, -0.5, v80
	ds_write_b32 v92, v22 offset:8
	v_fmac_f32_e32 v20, 0xbf5db3d7, v48
	v_fmac_f32_e32 v12, -0.5, v82
	ds_write2_b32 v93, v42, v0 offset1:1
	v_add_f32_e32 v0, v14, v16
	v_fmamk_f32 v2, v81, 0x3f5db3d7, v18
	v_fmac_f32_e32 v18, 0xbf5db3d7, v81
	ds_write_b32 v93, v20 offset:8
	ds_write2_b32 v94, v60, v2 offset1:1
	ds_write_b32 v94, v18 offset:8
	v_fmamk_f32 v2, v119, 0x3f5db3d7, v12
	v_add_f32_e32 v16, v16, v3
	v_sub_f32_e32 v13, v15, v13
	v_fmac_f32_e32 v3, -0.5, v0
	v_fmac_f32_e32 v10, -0.5, v121
	ds_write2_b32 v88, v120, v2 offset1:1
	v_fmac_f32_e32 v12, 0xbf5db3d7, v119
	v_add_f32_e32 v2, v14, v16
	v_fmamk_f32 v14, v13, 0x3f5db3d7, v3
	v_and_b32_e32 v41, 0xff, v84
	v_fmamk_f32 v0, v122, 0x3f5db3d7, v10
	ds_write_b32 v88, v12 offset:8
	ds_write2_b32 v50, v123, v0 offset1:1
	ds_write2_b32 v63, v2, v14 offset1:1
	v_mul_lo_u16 v0, 0xab, v41
	v_mov_b32_e32 v2, 0xaaab
	v_add_f32_e32 v12, v5, v7
	v_add_f32_e32 v7, v7, v1
	v_sub_f32_e32 v4, v6, v4
	v_lshrrev_b16 v24, 9, v0
	v_mul_u32_u24_sdwa v0, v85, v2 dst_sel:DWORD dst_unused:UNUSED_PAD src0_sel:WORD_0 src1_sel:DWORD
	v_fmac_f32_e32 v1, -0.5, v12
	v_fmac_f32_e32 v10, 0xbf5db3d7, v122
	v_fmac_f32_e32 v3, 0xbf5db3d7, v13
	v_mul_lo_u16 v6, v24, 3
	v_lshrrev_b32_e32 v14, 17, v0
	v_add_f32_e32 v0, v5, v7
	v_fmamk_f32 v5, v4, 0x3f5db3d7, v1
	v_fmac_f32_e32 v1, 0xbf5db3d7, v4
	ds_write_b32 v61, v10 offset:10508
	ds_write_b32 v61, v3 offset:12008
	ds_write2_b32 v11, v0, v5 offset1:1
	v_mov_b32_e32 v42, 5
	ds_write_b32 v11, v1 offset:8
	v_mul_u32_u24_sdwa v1, v86, v2 dst_sel:DWORD dst_unused:UNUSED_PAD src0_sel:WORD_0 src1_sel:DWORD
	v_sub_nc_u16 v26, v84, v6
	v_mul_u32_u24_sdwa v4, v87, v2 dst_sel:DWORD dst_unused:UNUSED_PAD src0_sel:WORD_0 src1_sel:DWORD
	v_mul_lo_u16 v6, v14, 3
	s_waitcnt lgkmcnt(0)
	v_lshrrev_b32_e32 v20, 17, v1
	v_lshlrev_b32_sdwa v0, v42, v26 dst_sel:DWORD dst_unused:UNUSED_PAD src0_sel:DWORD src1_sel:BYTE_0
	v_lshrrev_b32_e32 v12, 17, v4
	s_barrier
	buffer_gl0_inv
	v_mul_lo_u16 v1, v20, 3
	s_clause 0x1
	global_load_dwordx4 v[49:52], v0, s[12:13]
	global_load_dwordx4 v[59:62], v0, s[12:13] offset:16
	v_mul_lo_u16 v0, v12, 3
	v_sub_nc_u16 v16, v85, v6
	v_sub_nc_u16 v22, v86, v1
	v_and_b32_e32 v48, 0xff, v83
	v_cmp_gt_u32_e64 s0, 0x4b, v83
	v_sub_nc_u16 v13, v87, v0
	v_lshlrev_b32_sdwa v3, v42, v16 dst_sel:DWORD dst_unused:UNUSED_PAD src0_sel:DWORD src1_sel:WORD_0
	v_lshlrev_b32_sdwa v0, v42, v22 dst_sel:DWORD dst_unused:UNUSED_PAD src0_sel:DWORD src1_sel:WORD_0
	;; [unrolled: 1-line block ×3, first 2 shown]
	s_clause 0x4
	global_load_dwordx4 v[55:58], v3, s[12:13]
	global_load_dwordx4 v[63:66], v3, s[12:13] offset:16
	global_load_dwordx4 v[122:125], v0, s[12:13]
	global_load_dwordx4 v[128:131], v1, s[12:13]
	global_load_dwordx4 v[132:135], v0, s[12:13] offset:16
	v_mul_lo_u16 v0, 0xab, v48
	global_load_dwordx4 v[136:139], v1, s[12:13] offset:16
	v_lshrrev_b16 v126, 9, v0
	v_mul_u32_u24_sdwa v0, v90, v2 dst_sel:DWORD dst_unused:UNUSED_PAD src0_sel:WORD_0 src1_sel:DWORD
	v_mul_lo_u16 v1, v126, 3
	v_lshrrev_b32_e32 v15, 17, v0
	v_sub_nc_u16 v127, v83, v1
	v_mul_lo_u16 v0, v15, 3
	v_lshlrev_b32_sdwa v1, v42, v127 dst_sel:DWORD dst_unused:UNUSED_PAD src0_sel:DWORD src1_sel:BYTE_0
	v_sub_nc_u16 v18, v90, v0
	global_load_dwordx4 v[140:143], v1, s[12:13]
	v_lshlrev_b32_sdwa v4, v42, v18 dst_sel:DWORD dst_unused:UNUSED_PAD src0_sel:DWORD src1_sel:WORD_0
	s_clause 0x2
	global_load_dwordx4 v[144:147], v4, s[12:13]
	global_load_dwordx4 v[0:3], v1, s[12:13] offset:16
	global_load_dwordx4 v[4:7], v4, s[12:13] offset:16
	ds_read2_b32 v[10:11], v97 offset0:107 offset1:232
	ds_read2_b32 v[80:81], v99 offset0:89 offset1:214
	;; [unrolled: 1-line block ×9, first 2 shown]
	s_waitcnt vmcnt(11) lgkmcnt(8)
	v_mul_f32_e32 v82, v10, v50
	v_mul_f32_e32 v28, v67, v50
	;; [unrolled: 1-line block ×3, first 2 shown]
	s_waitcnt lgkmcnt(7)
	v_mul_f32_e32 v77, v80, v52
	s_waitcnt vmcnt(10) lgkmcnt(5)
	v_mul_f32_e32 v121, v154, v62
	v_fmac_f32_e32 v82, v67, v49
	v_fma_f32 v78, v10, v49, -v28
	v_fma_f32 v79, v80, v51, -v50
	v_mul_f32_e32 v80, v152, v60
	v_mul_f32_e32 v10, v148, v60
	v_fmac_f32_e32 v77, v74, v51
	v_mul_f32_e32 v28, v150, v62
	v_fmac_f32_e32 v121, v150, v61
	s_waitcnt vmcnt(9)
	v_mul_f32_e32 v71, v11, v56
	v_mul_f32_e32 v52, v68, v56
	;; [unrolled: 1-line block ×4, first 2 shown]
	s_waitcnt vmcnt(8)
	v_mul_f32_e32 v73, v153, v64
	v_fmac_f32_e32 v71, v68, v55
	v_mul_f32_e32 v51, v149, v64
	v_fma_f32 v68, v11, v55, -v52
	v_mul_f32_e32 v11, v151, v66
	v_fmac_f32_e32 v72, v75, v57
	s_waitcnt vmcnt(7) lgkmcnt(4)
	v_mul_f32_e32 v62, v156, v123
	v_mul_f32_e32 v55, v39, v123
	v_fma_f32 v70, v81, v57, -v53
	s_waitcnt lgkmcnt(3)
	v_mul_f32_e32 v57, v158, v125
	s_waitcnt vmcnt(6)
	v_mul_f32_e32 v52, v157, v129
	v_mul_f32_e32 v56, v40, v129
	v_fmac_f32_e32 v80, v148, v59
	v_fma_f32 v120, v152, v59, -v10
	s_waitcnt vmcnt(5) lgkmcnt(2)
	v_mul_f32_e32 v59, v160, v133
	v_mul_f32_e32 v10, v35, v133
	;; [unrolled: 1-line block ×4, first 2 shown]
	v_fma_f32 v81, v154, v61, -v28
	v_fmac_f32_e32 v73, v149, v63
	v_fma_f32 v75, v153, v63, -v51
	v_fma_f32 v76, v155, v65, -v11
	v_fmac_f32_e32 v62, v39, v122
	v_fma_f32 v61, v156, v122, -v55
	ds_read_b32 v123, v113
	v_fmac_f32_e32 v57, v37, v124
	v_fmac_f32_e32 v52, v40, v128
	v_fma_f32 v51, v157, v128, -v56
	v_fmac_f32_e32 v59, v35, v132
	v_fma_f32 v66, v160, v132, -v10
	ds_read2_b32 v[128:129], v102 offset0:77 offset1:202
	ds_read_b32 v122, v114
	ds_read_b32 v63, v115
	;; [unrolled: 1-line block ×5, first 2 shown]
	ds_read_b32 v37, v95 offset:14500
	ds_read2_b32 v[10:11], v101 offset0:59 offset1:184
	s_waitcnt lgkmcnt(10)
	v_mul_f32_e32 v67, v162, v135
	v_mul_f32_e32 v28, v33, v135
	s_waitcnt vmcnt(4)
	v_mul_f32_e32 v50, v161, v137
	v_mul_f32_e32 v49, v159, v131
	;; [unrolled: 1-line block ×3, first 2 shown]
	v_fmac_f32_e32 v67, v33, v134
	v_mul_f32_e32 v33, v34, v139
	v_mul_f32_e32 v119, v36, v137
	v_fmac_f32_e32 v50, v36, v136
	s_waitcnt vmcnt(3)
	v_mul_f32_e32 v36, v32, v143
	s_waitcnt vmcnt(2) lgkmcnt(9)
	v_mul_f32_e32 v40, v164, v145
	v_fma_f32 v55, v163, v138, -v33
	v_mul_f32_e32 v33, v165, v143
	v_fmac_f32_e32 v74, v151, v65
	v_fma_f32 v65, v158, v124, -v53
	v_fmac_f32_e32 v49, v38, v130
	v_fma_f32 v53, v159, v130, -v58
	v_mul_f32_e32 v58, v163, v139
	v_mul_f32_e32 v38, v31, v145
	v_fmac_f32_e32 v33, v32, v142
	v_fma_f32 v124, v165, v142, -v36
	v_fmac_f32_e32 v40, v31, v144
	s_waitcnt vmcnt(1) lgkmcnt(7)
	v_mul_f32_e32 v31, v129, v1
	v_mul_f32_e32 v36, v30, v1
	s_waitcnt lgkmcnt(0)
	v_mul_f32_e32 v32, v11, v3
	v_fma_f32 v60, v162, v134, -v28
	v_mul_f32_e32 v28, v123, v141
	v_fmac_f32_e32 v58, v34, v138
	v_mul_f32_e32 v34, v54, v141
	v_fmac_f32_e32 v31, v30, v0
	v_fma_f32 v125, v129, v0, -v36
	v_fmac_f32_e32 v32, v9, v2
	v_mul_f32_e32 v3, v9, v3
	s_waitcnt vmcnt(0)
	v_mul_f32_e32 v0, v10, v5
	v_mul_f32_e32 v9, v8, v5
	v_fmac_f32_e32 v28, v54, v140
	v_mul_f32_e32 v5, v37, v7
	v_mul_f32_e32 v7, v69, v7
	v_fma_f32 v123, v123, v140, -v34
	v_fma_f32 v129, v11, v2, -v3
	v_fmac_f32_e32 v0, v8, v4
	v_fma_f32 v2, v10, v4, -v9
	v_add_f32_e32 v4, v33, v31
	v_fma_f32 v56, v161, v136, -v119
	v_mul_f32_e32 v54, v128, v147
	v_fma_f32 v3, v37, v6, -v7
	v_mov_b32_e32 v119, 2
	v_mov_b32_e32 v7, 60
	v_add_f32_e32 v30, v28, v32
	v_mul_f32_e32 v34, v29, v147
	v_add_f32_e32 v8, v25, v28
	v_fma_f32 v4, -0.5, v4, v25
	v_sub_f32_e32 v9, v123, v129
	v_fmac_f32_e32 v54, v29, v146
	v_fmac_f32_e32 v5, v69, v6
	v_sub_f32_e32 v6, v28, v33
	v_sub_f32_e32 v10, v32, v31
	v_lshlrev_b32_sdwa v11, v119, v127 dst_sel:DWORD dst_unused:UNUSED_PAD src0_sel:DWORD src1_sel:BYTE_0
	v_mul_u32_u24_sdwa v29, v126, v7 dst_sel:DWORD dst_unused:UNUSED_PAD src0_sel:WORD_0 src1_sel:DWORD
	v_sub_f32_e32 v36, v124, v125
	v_fmac_f32_e32 v25, -0.5, v30
	v_fma_f32 v1, v128, v146, -v34
	v_add_f32_e32 v8, v8, v33
	v_fmamk_f32 v34, v9, 0xbf737871, v4
	v_add_f32_e32 v6, v6, v10
	v_add3_u32 v126, 0, v29, v11
	v_sub_f32_e32 v10, v33, v28
	v_sub_f32_e32 v11, v31, v32
	v_fmamk_f32 v29, v36, 0x3f737871, v25
	v_fmac_f32_e32 v25, 0xbf737871, v36
	v_add_f32_e32 v8, v8, v31
	v_fmac_f32_e32 v34, 0xbf167918, v36
	v_add_f32_e32 v10, v10, v11
	v_fmac_f32_e32 v29, 0xbf167918, v9
	v_fmac_f32_e32 v25, 0x3f167918, v9
	;; [unrolled: 1-line block ×3, first 2 shown]
	v_add_f32_e32 v8, v8, v32
	v_fmac_f32_e32 v34, 0x3e9e377a, v6
	v_fmac_f32_e32 v29, 0x3e9e377a, v10
	;; [unrolled: 1-line block ×4, first 2 shown]
	v_sub_f32_e32 v9, v82, v77
	v_sub_f32_e32 v10, v121, v80
	ds_read_b32 v128, v95
	s_waitcnt lgkmcnt(0)
	s_barrier
	buffer_gl0_inv
	ds_write2_b32 v126, v8, v34 offset1:3
	ds_write2_b32 v126, v29, v25 offset0:6 offset1:9
	v_add_f32_e32 v8, v77, v80
	v_fmac_f32_e32 v4, 0x3e9e377a, v6
	v_add_f32_e32 v6, v9, v10
	v_mul_u32_u24_sdwa v7, v24, v7 dst_sel:DWORD dst_unused:UNUSED_PAD src0_sel:WORD_0 src1_sel:DWORD
	v_lshlrev_b32_sdwa v9, v119, v26 dst_sel:DWORD dst_unused:UNUSED_PAD src0_sel:DWORD src1_sel:BYTE_0
	v_add_f32_e32 v11, v82, v121
	v_add_f32_e32 v10, v27, v82
	v_fma_f32 v8, -0.5, v8, v27
	v_sub_f32_e32 v24, v78, v81
	v_add3_u32 v7, 0, v7, v9
	v_sub_f32_e32 v9, v79, v120
	v_fmac_f32_e32 v27, -0.5, v11
	v_add_f32_e32 v10, v10, v77
	v_fmamk_f32 v11, v24, 0xbf737871, v8
	v_sub_f32_e32 v25, v77, v82
	v_sub_f32_e32 v26, v80, v121
	v_fmamk_f32 v29, v9, 0x3f737871, v27
	v_fmac_f32_e32 v27, 0xbf737871, v9
	v_fmac_f32_e32 v8, 0x3f737871, v24
	v_add_f32_e32 v10, v10, v80
	v_fmac_f32_e32 v11, 0xbf167918, v9
	v_add_f32_e32 v25, v25, v26
	v_fmac_f32_e32 v29, 0xbf167918, v24
	v_fmac_f32_e32 v27, 0x3f167918, v24
	;; [unrolled: 1-line block ×3, first 2 shown]
	v_sub_f32_e32 v9, v71, v72
	v_sub_f32_e32 v24, v74, v73
	v_add_f32_e32 v10, v10, v121
	v_fmac_f32_e32 v11, 0x3e9e377a, v6
	v_fmac_f32_e32 v29, 0x3e9e377a, v25
	;; [unrolled: 1-line block ×3, first 2 shown]
	ds_write_b32 v126, v4 offset:48
	ds_write2_b32 v7, v10, v11 offset1:3
	ds_write2_b32 v7, v29, v27 offset0:6 offset1:9
	v_fmac_f32_e32 v8, 0x3e9e377a, v6
	v_add_f32_e32 v4, v9, v24
	v_add_f32_e32 v6, v72, v73
	v_lshlrev_b32_sdwa v9, v119, v16 dst_sel:DWORD dst_unused:UNUSED_PAD src0_sel:DWORD src1_sel:WORD_0
	v_mul_u32_u24_e32 v10, 60, v14
	v_add_f32_e32 v14, v71, v74
	v_add_f32_e32 v11, v23, v71
	v_fma_f32 v6, -0.5, v6, v23
	v_sub_f32_e32 v16, v68, v76
	v_add3_u32 v127, 0, v10, v9
	v_sub_f32_e32 v9, v70, v75
	v_fmac_f32_e32 v23, -0.5, v14
	v_sub_f32_e32 v14, v72, v71
	v_sub_f32_e32 v24, v73, v74
	v_add_f32_e32 v10, v11, v72
	v_fmamk_f32 v11, v16, 0xbf737871, v6
	v_fmamk_f32 v25, v9, 0x3f737871, v23
	v_fmac_f32_e32 v23, 0xbf737871, v9
	v_add_f32_e32 v14, v14, v24
	v_fmac_f32_e32 v6, 0x3f737871, v16
	v_add_f32_e32 v10, v10, v73
	v_fmac_f32_e32 v25, 0xbf167918, v16
	v_fmac_f32_e32 v23, 0x3f167918, v16
	;; [unrolled: 1-line block ×4, first 2 shown]
	v_sub_f32_e32 v9, v62, v57
	v_fmac_f32_e32 v25, 0x3e9e377a, v14
	v_fmac_f32_e32 v23, 0x3e9e377a, v14
	v_sub_f32_e32 v14, v67, v59
	v_add_f32_e32 v10, v10, v74
	v_fmac_f32_e32 v11, 0x3e9e377a, v4
	ds_write_b32 v7, v8 offset:48
	ds_write2_b32 v127, v10, v11 offset1:3
	ds_write2_b32 v127, v25, v23 offset0:6 offset1:9
	v_fmac_f32_e32 v6, 0x3e9e377a, v4
	v_add_f32_e32 v4, v9, v14
	v_add_f32_e32 v8, v57, v59
	v_lshlrev_b32_sdwa v9, v119, v22 dst_sel:DWORD dst_unused:UNUSED_PAD src0_sel:DWORD src1_sel:WORD_0
	v_mul_u32_u24_e32 v10, 60, v20
	v_add_f32_e32 v14, v62, v67
	v_add_f32_e32 v11, v21, v62
	v_fma_f32 v8, -0.5, v8, v21
	v_sub_f32_e32 v16, v61, v60
	v_add3_u32 v130, 0, v10, v9
	v_sub_f32_e32 v9, v65, v66
	v_fmac_f32_e32 v21, -0.5, v14
	v_add_f32_e32 v10, v11, v57
	v_fmamk_f32 v11, v16, 0xbf737871, v8
	v_sub_f32_e32 v14, v57, v62
	v_sub_f32_e32 v20, v59, v67
	v_fmamk_f32 v22, v9, 0x3f737871, v21
	v_fmac_f32_e32 v21, 0xbf737871, v9
	v_add_f32_e32 v10, v10, v59
	v_fmac_f32_e32 v11, 0xbf167918, v9
	v_add_f32_e32 v14, v14, v20
	v_fmac_f32_e32 v22, 0xbf167918, v16
	v_fmac_f32_e32 v21, 0x3f167918, v16
	;; [unrolled: 1-line block ×3, first 2 shown]
	v_add_f32_e32 v10, v10, v67
	v_fmac_f32_e32 v11, 0x3e9e377a, v4
	v_fmac_f32_e32 v22, 0x3e9e377a, v14
	;; [unrolled: 1-line block ×4, first 2 shown]
	v_sub_f32_e32 v9, v52, v49
	v_sub_f32_e32 v14, v58, v50
	ds_write_b32 v127, v6 offset:48
	ds_write2_b32 v130, v10, v11 offset1:3
	ds_write2_b32 v130, v22, v21 offset0:6 offset1:9
	v_add_f32_e32 v6, v49, v50
	v_fmac_f32_e32 v8, 0x3e9e377a, v4
	v_mul_u32_u24_e32 v10, 60, v12
	v_add_f32_e32 v4, v9, v14
	v_lshlrev_b32_sdwa v9, v119, v13 dst_sel:DWORD dst_unused:UNUSED_PAD src0_sel:DWORD src1_sel:WORD_0
	v_add_f32_e32 v12, v52, v58
	v_add_f32_e32 v11, v19, v52
	v_fma_f32 v6, -0.5, v6, v19
	v_sub_f32_e32 v13, v51, v55
	v_add3_u32 v131, 0, v10, v9
	v_sub_f32_e32 v9, v53, v56
	v_fmac_f32_e32 v19, -0.5, v12
	v_add_f32_e32 v10, v11, v49
	v_fmamk_f32 v11, v13, 0xbf737871, v6
	v_fmac_f32_e32 v6, 0x3f737871, v13
	v_sub_f32_e32 v12, v49, v52
	v_sub_f32_e32 v14, v50, v58
	v_fmamk_f32 v16, v9, 0x3f737871, v19
	v_fmac_f32_e32 v19, 0xbf737871, v9
	v_add_f32_e32 v10, v10, v50
	v_fmac_f32_e32 v11, 0xbf167918, v9
	v_fmac_f32_e32 v6, 0x3f167918, v9
	v_add_f32_e32 v12, v12, v14
	v_fmac_f32_e32 v16, 0xbf167918, v13
	;; [unrolled: 3-line block ×3, first 2 shown]
	v_fmac_f32_e32 v6, 0x3e9e377a, v4
	v_fmac_f32_e32 v16, 0x3e9e377a, v12
	;; [unrolled: 1-line block ×3, first 2 shown]
	v_sub_f32_e32 v9, v40, v54
	v_sub_f32_e32 v12, v5, v0
	ds_write_b32 v130, v8 offset:48
	ds_write2_b32 v131, v10, v11 offset1:3
	ds_write2_b32 v131, v16, v19 offset0:6 offset1:9
	v_add_f32_e32 v8, v54, v0
	ds_write_b32 v131, v6 offset:48
	v_lshlrev_b32_sdwa v6, v119, v18 dst_sel:DWORD dst_unused:UNUSED_PAD src0_sel:DWORD src1_sel:WORD_0
	v_mul_u32_u24_e32 v10, 60, v15
	v_add_f32_e32 v11, v40, v5
	v_fma_f32 v38, v164, v144, -v38
	v_add_f32_e32 v4, v9, v12
	v_add_f32_e32 v9, v17, v40
	v_fma_f32 v8, -0.5, v8, v17
	v_add3_u32 v6, 0, v10, v6
	v_sub_f32_e32 v10, v1, v2
	v_fmac_f32_e32 v17, -0.5, v11
	v_sub_f32_e32 v12, v38, v3
	v_sub_f32_e32 v13, v54, v40
	;; [unrolled: 1-line block ×4, first 2 shown]
	v_fmamk_f32 v15, v10, 0x3f737871, v17
	v_fmac_f32_e32 v17, 0xbf737871, v10
	v_fmamk_f32 v11, v12, 0xbf737871, v8
	v_fmac_f32_e32 v8, 0x3f737871, v12
	v_add_f32_e32 v13, v13, v14
	v_fmac_f32_e32 v15, 0xbf167918, v12
	v_fmac_f32_e32 v17, 0x3f167918, v12
	v_add_f32_e32 v12, v124, v125
	v_fmac_f32_e32 v11, 0xbf167918, v10
	v_fmac_f32_e32 v8, 0x3f167918, v10
	v_sub_f32_e32 v14, v129, v125
	v_add_f32_e32 v10, v128, v123
	v_fma_f32 v133, -0.5, v12, v128
	v_sub_f32_e32 v12, v123, v124
	v_fmac_f32_e32 v11, 0x3e9e377a, v4
	v_fmac_f32_e32 v8, 0x3e9e377a, v4
	v_add_f32_e32 v10, v10, v124
	v_sub_f32_e32 v132, v28, v32
	v_add_f32_e32 v4, v12, v14
	v_add_f32_e32 v14, v123, v129
	v_sub_f32_e32 v123, v124, v123
	v_add_f32_e32 v10, v10, v125
	v_sub_f32_e32 v124, v125, v129
	v_sub_f32_e32 v82, v82, v121
	v_fmac_f32_e32 v128, -0.5, v14
	v_add_f32_e32 v121, v79, v120
	v_add_f32_e32 v136, v10, v129
	;; [unrolled: 1-line block ×4, first 2 shown]
	v_fmamk_f32 v125, v134, 0xbf737871, v128
	v_fmac_f32_e32 v128, 0x3f737871, v134
	v_fmamk_f32 v135, v132, 0x3f737871, v133
	v_fmac_f32_e32 v133, 0xbf737871, v132
	v_sub_f32_e32 v124, v81, v120
	v_fmac_f32_e32 v125, 0x3f167918, v132
	v_fmac_f32_e32 v128, 0xbf167918, v132
	v_add_f32_e32 v132, v122, v78
	v_fma_f32 v121, -0.5, v121, v122
	v_sub_f32_e32 v77, v77, v80
	v_fmac_f32_e32 v125, 0x3e9e377a, v123
	v_fmac_f32_e32 v128, 0x3e9e377a, v123
	v_sub_f32_e32 v123, v78, v79
	v_fmac_f32_e32 v122, -0.5, v129
	v_add_f32_e32 v9, v9, v54
	v_sub_f32_e32 v78, v79, v78
	v_fmac_f32_e32 v135, 0x3f167918, v134
	v_add_f32_e32 v80, v123, v124
	v_add_f32_e32 v123, v132, v79
	v_fmamk_f32 v124, v82, 0x3f737871, v121
	v_sub_f32_e32 v79, v120, v81
	v_fmamk_f32 v129, v77, 0xbf737871, v122
	v_fmac_f32_e32 v122, 0x3f737871, v77
	v_add_f32_e32 v9, v9, v0
	v_fmac_f32_e32 v133, 0xbf167918, v134
	v_add_f32_e32 v120, v123, v120
	;; [unrolled: 2-line block ×3, first 2 shown]
	v_fmac_f32_e32 v129, 0x3f167918, v82
	v_fmac_f32_e32 v122, 0xbf167918, v82
	v_add_f32_e32 v9, v9, v5
	v_fmac_f32_e32 v135, 0x3e9e377a, v4
	v_fmac_f32_e32 v133, 0x3e9e377a, v4
	v_add_f32_e32 v4, v120, v81
	v_fmac_f32_e32 v124, 0x3e9e377a, v80
	v_fmac_f32_e32 v15, 0x3e9e377a, v13
	v_fmac_f32_e32 v17, 0x3e9e377a, v13
	v_fmac_f32_e32 v129, 0x3e9e377a, v78
	v_fmac_f32_e32 v122, 0x3e9e377a, v78
	ds_write2_b32 v6, v9, v11 offset1:3
	ds_write2_b32 v6, v15, v17 offset0:6 offset1:9
	ds_write_b32 v6, v8 offset:48
	s_waitcnt lgkmcnt(0)
	s_barrier
	buffer_gl0_inv
	ds_read_b32 v36, v95
	ds_read_b32 v33, v115
	;; [unrolled: 1-line block ×7, first 2 shown]
	ds_read_b32 v37, v95 offset:14500
	ds_read2_b32 v[12:13], v100 offset0:95 offset1:220
	ds_read2_b32 v[10:11], v102 offset0:77 offset1:202
	;; [unrolled: 1-line block ×11, first 2 shown]
	s_waitcnt lgkmcnt(0)
	s_barrier
	buffer_gl0_inv
	ds_write2_b32 v126, v136, v135 offset1:3
	ds_write2_b32 v126, v125, v128 offset0:6 offset1:9
	ds_write_b32 v126, v133 offset:48
	ds_write2_b32 v7, v4, v124 offset1:3
	ds_write2_b32 v7, v129, v122 offset0:6 offset1:9
	v_add_f32_e32 v4, v70, v75
	v_add_f32_e32 v78, v63, v68
	v_fmac_f32_e32 v121, 0xbf737871, v82
	v_sub_f32_e32 v71, v71, v74
	v_sub_f32_e32 v72, v72, v73
	v_fma_f32 v4, -0.5, v4, v63
	v_add_f32_e32 v73, v78, v70
	v_add_f32_e32 v78, v68, v76
	v_fmac_f32_e32 v121, 0xbf167918, v77
	v_sub_f32_e32 v74, v68, v70
	v_sub_f32_e32 v77, v76, v75
	v_fmamk_f32 v79, v71, 0x3f737871, v4
	v_fmac_f32_e32 v63, -0.5, v78
	v_add_f32_e32 v73, v73, v75
	v_fmac_f32_e32 v121, 0x3e9e377a, v80
	v_add_f32_e32 v74, v74, v77
	v_fmac_f32_e32 v79, 0x3f167918, v72
	v_sub_f32_e32 v68, v70, v68
	v_sub_f32_e32 v70, v75, v76
	v_fmamk_f32 v75, v72, 0xbf737871, v63
	v_fmac_f32_e32 v63, 0x3f737871, v72
	v_add_f32_e32 v73, v73, v76
	v_fmac_f32_e32 v79, 0x3e9e377a, v74
	v_add_f32_e32 v68, v68, v70
	v_fmac_f32_e32 v75, 0x3f167918, v71
	v_fmac_f32_e32 v63, 0xbf167918, v71
	ds_write_b32 v7, v121 offset:48
	ds_write2_b32 v127, v73, v79 offset1:3
	v_sub_f32_e32 v7, v62, v67
	v_add_f32_e32 v62, v65, v66
	v_add_f32_e32 v70, v61, v60
	v_fmac_f32_e32 v4, 0xbf737871, v71
	v_fmac_f32_e32 v75, 0x3e9e377a, v68
	;; [unrolled: 1-line block ×3, first 2 shown]
	v_sub_f32_e32 v67, v61, v65
	v_sub_f32_e32 v68, v60, v66
	v_add_f32_e32 v71, v64, v61
	v_fma_f32 v62, -0.5, v62, v64
	v_sub_f32_e32 v57, v57, v59
	v_fmac_f32_e32 v64, -0.5, v70
	v_add_f32_e32 v59, v67, v68
	v_add_f32_e32 v67, v71, v65
	v_fmamk_f32 v68, v7, 0x3f737871, v62
	v_sub_f32_e32 v61, v65, v61
	v_sub_f32_e32 v65, v66, v60
	v_fmamk_f32 v70, v57, 0xbf737871, v64
	v_fmac_f32_e32 v64, 0x3f737871, v57
	v_fmac_f32_e32 v4, 0xbf167918, v72
	v_add_f32_e32 v66, v67, v66
	v_fmac_f32_e32 v68, 0x3f167918, v57
	v_add_f32_e32 v61, v61, v65
	v_fmac_f32_e32 v70, 0x3f167918, v7
	v_fmac_f32_e32 v64, 0xbf167918, v7
	;; [unrolled: 1-line block ×4, first 2 shown]
	v_add_f32_e32 v7, v66, v60
	v_fmac_f32_e32 v68, 0x3e9e377a, v59
	v_fmac_f32_e32 v70, 0x3e9e377a, v61
	;; [unrolled: 1-line block ×4, first 2 shown]
	ds_write2_b32 v127, v75, v63 offset0:6 offset1:9
	ds_write_b32 v127, v4 offset:48
	ds_write2_b32 v130, v7, v68 offset1:3
	ds_write2_b32 v130, v70, v64 offset0:6 offset1:9
	v_sub_f32_e32 v4, v52, v58
	v_add_f32_e32 v7, v53, v56
	v_add_f32_e32 v58, v51, v55
	v_fmac_f32_e32 v62, 0x3e9e377a, v59
	v_sub_f32_e32 v52, v51, v53
	v_sub_f32_e32 v57, v55, v56
	v_add_f32_e32 v59, v39, v51
	v_fma_f32 v7, -0.5, v7, v39
	v_sub_f32_e32 v49, v49, v50
	v_fmac_f32_e32 v39, -0.5, v58
	v_add_f32_e32 v50, v52, v57
	v_add_f32_e32 v52, v59, v53
	v_sub_f32_e32 v51, v53, v51
	v_sub_f32_e32 v53, v56, v55
	v_fmamk_f32 v58, v49, 0xbf737871, v39
	v_fmac_f32_e32 v39, 0x3f737871, v49
	v_fmamk_f32 v57, v4, 0x3f737871, v7
	v_add_f32_e32 v52, v52, v56
	v_add_f32_e32 v51, v51, v53
	v_fmac_f32_e32 v58, 0x3f167918, v4
	v_fmac_f32_e32 v39, 0xbf167918, v4
	;; [unrolled: 1-line block ×4, first 2 shown]
	v_add_f32_e32 v4, v52, v55
	v_fmac_f32_e32 v58, 0x3e9e377a, v51
	v_fmac_f32_e32 v39, 0x3e9e377a, v51
	;; [unrolled: 1-line block ×4, first 2 shown]
	ds_write_b32 v130, v62 offset:48
	ds_write2_b32 v131, v4, v57 offset1:3
	ds_write2_b32 v131, v58, v39 offset0:6 offset1:9
	v_add_f32_e32 v39, v35, v38
	v_add_f32_e32 v4, v1, v2
	v_fmac_f32_e32 v7, 0x3e9e377a, v50
	v_sub_f32_e32 v5, v40, v5
	v_sub_f32_e32 v40, v38, v1
	v_add_f32_e32 v39, v39, v1
	v_fma_f32 v4, -0.5, v4, v35
	v_sub_f32_e32 v49, v3, v2
	ds_write_b32 v131, v7 offset:48
	v_add_f32_e32 v7, v38, v3
	v_add_f32_e32 v39, v39, v2
	v_sub_f32_e32 v1, v1, v38
	v_sub_f32_e32 v2, v2, v3
	;; [unrolled: 1-line block ×3, first 2 shown]
	v_fmamk_f32 v50, v5, 0x3f737871, v4
	v_fmac_f32_e32 v35, -0.5, v7
	v_mul_lo_u16 v7, 0x89, v41
	v_add_f32_e32 v1, v1, v2
	v_fmac_f32_e32 v4, 0xbf737871, v5
	v_mov_b32_e32 v2, 0x8889
	v_fmac_f32_e32 v50, 0x3f167918, v0
	v_fmamk_f32 v38, v0, 0xbf737871, v35
	v_fmac_f32_e32 v35, 0x3f737871, v0
	v_lshrrev_b16 v59, 11, v7
	v_fmac_f32_e32 v4, 0xbf167918, v0
	v_mul_u32_u24_sdwa v0, v85, v2 dst_sel:DWORD dst_unused:UNUSED_PAD src0_sel:WORD_0 src1_sel:DWORD
	v_fmac_f32_e32 v38, 0x3f167918, v5
	v_fmac_f32_e32 v35, 0xbf167918, v5
	v_mul_lo_u16 v5, v59, 15
	v_add_f32_e32 v40, v40, v49
	v_lshrrev_b32_e32 v55, 19, v0
	v_add_f32_e32 v3, v39, v3
	v_fmac_f32_e32 v38, 0x3e9e377a, v1
	v_sub_nc_u16 v60, v84, v5
	v_fmac_f32_e32 v50, 0x3e9e377a, v40
	v_mul_lo_u16 v0, v55, 15
	v_fmac_f32_e32 v35, 0x3e9e377a, v1
	v_fmac_f32_e32 v4, 0x3e9e377a, v40
	v_lshlrev_b32_sdwa v1, v42, v60 dst_sel:DWORD dst_unused:UNUSED_PAD src0_sel:DWORD src1_sel:BYTE_0
	ds_write2_b32 v6, v3, v50 offset1:3
	ds_write2_b32 v6, v38, v35 offset0:6 offset1:9
	ds_write_b32 v6, v4 offset:48
	v_sub_nc_u16 v56, v85, v0
	s_waitcnt lgkmcnt(0)
	s_barrier
	buffer_gl0_inv
	s_clause 0x1
	global_load_dwordx4 v[61:64], v1, s[12:13] offset:96
	global_load_dwordx4 v[79:82], v1, s[12:13] offset:112
	v_lshlrev_b32_sdwa v0, v42, v56 dst_sel:DWORD dst_unused:UNUSED_PAD src0_sel:DWORD src1_sel:WORD_0
	v_mul_u32_u24_sdwa v3, v86, v2 dst_sel:DWORD dst_unused:UNUSED_PAD src0_sel:WORD_0 src1_sel:DWORD
	v_mul_u32_u24_sdwa v1, v87, v2 dst_sel:DWORD dst_unused:UNUSED_PAD src0_sel:WORD_0 src1_sel:DWORD
	v_add_nc_u32_e32 v126, 0x3600, v95
	v_add_nc_u32_e32 v127, 0x2e00, v95
	s_clause 0x1
	global_load_dwordx4 v[72:75], v0, s[12:13] offset:96
	global_load_dwordx4 v[122:125], v0, s[12:13] offset:112
	v_lshrrev_b32_e32 v54, 19, v3
	v_lshrrev_b32_e32 v50, 19, v1
	v_mul_lo_u16 v3, v54, 15
	v_mul_lo_u16 v0, v50, 15
	v_sub_nc_u16 v58, v86, v3
	v_sub_nc_u16 v51, v87, v0
	v_lshlrev_b32_sdwa v1, v42, v58 dst_sel:DWORD dst_unused:UNUSED_PAD src0_sel:DWORD src1_sel:WORD_0
	v_lshlrev_b32_sdwa v0, v42, v51 dst_sel:DWORD dst_unused:UNUSED_PAD src0_sel:DWORD src1_sel:WORD_0
	s_clause 0x2
	global_load_dwordx4 v[129:132], v1, s[12:13] offset:96
	global_load_dwordx4 v[133:136], v0, s[12:13] offset:96
	;; [unrolled: 1-line block ×3, first 2 shown]
	v_mul_lo_u16 v1, 0x89, v48
	global_load_dwordx4 v[146:149], v0, s[12:13] offset:112
	v_lshrrev_b16 v65, 11, v1
	v_mul_u32_u24_sdwa v1, v90, v2 dst_sel:DWORD dst_unused:UNUSED_PAD src0_sel:WORD_0 src1_sel:DWORD
	v_mul_lo_u16 v0, v65, 15
	v_lshrrev_b32_e32 v52, 19, v1
	v_sub_nc_u16 v66, v83, v0
	v_mul_lo_u16 v0, v52, 15
	v_lshlrev_b32_sdwa v1, v42, v66 dst_sel:DWORD dst_unused:UNUSED_PAD src0_sel:DWORD src1_sel:BYTE_0
	v_sub_nc_u16 v53, v90, v0
	v_lshlrev_b32_sdwa v66, v119, v66 dst_sel:DWORD dst_unused:UNUSED_PAD src0_sel:DWORD src1_sel:BYTE_0
	global_load_dwordx4 v[150:153], v1, s[12:13] offset:96
	v_lshlrev_b32_sdwa v0, v42, v53 dst_sel:DWORD dst_unused:UNUSED_PAD src0_sel:DWORD src1_sel:WORD_0
	s_clause 0x2
	global_load_dwordx4 v[154:157], v0, s[12:13] offset:96
	global_load_dwordx4 v[4:7], v1, s[12:13] offset:112
	;; [unrolled: 1-line block ×3, first 2 shown]
	ds_read2_b32 v[38:39], v97 offset0:107 offset1:232
	ds_read2_b32 v[48:49], v99 offset0:89 offset1:214
	;; [unrolled: 1-line block ×4, first 2 shown]
	ds_read_b32 v57, v113
	s_waitcnt vmcnt(11)
	v_mul_f32_e32 v35, v28, v62
	s_waitcnt lgkmcnt(3)
	v_mul_f32_e32 v77, v48, v64
	v_mul_f32_e32 v128, v38, v62
	v_mul_f32_e32 v40, v26, v64
	s_waitcnt vmcnt(10) lgkmcnt(1)
	v_mul_f32_e32 v141, v120, v82
	v_fma_f32 v76, v38, v61, -v35
	v_fmac_f32_e32 v77, v26, v63
	s_waitcnt vmcnt(9)
	v_mul_f32_e32 v71, v39, v73
	v_mul_f32_e32 v26, v29, v73
	;; [unrolled: 1-line block ×3, first 2 shown]
	v_fmac_f32_e32 v128, v28, v61
	v_fma_f32 v78, v48, v63, -v40
	v_mul_f32_e32 v40, v27, v75
	v_fmac_f32_e32 v71, v29, v72
	v_fma_f32 v35, v39, v72, -v26
	v_fmac_f32_e32 v38, v27, v74
	ds_read2_b32 v[27:28], v105 offset0:101 offset1:226
	v_mul_f32_e32 v26, v24, v80
	v_mul_f32_e32 v29, v22, v82
	v_fmac_f32_e32 v141, v22, v81
	s_waitcnt vmcnt(8)
	v_mul_f32_e32 v22, v25, v123
	v_fma_f32 v48, v49, v74, -v40
	v_mul_f32_e32 v140, v67, v80
	ds_read2_b32 v[61:62], v106 offset0:83 offset1:208
	v_mul_f32_e32 v73, v68, v123
	v_fma_f32 v139, v67, v79, -v26
	ds_read2_b32 v[63:64], v104 offset0:65 offset1:190
	v_fma_f32 v74, v68, v122, -v22
	ds_read2_b32 v[67:68], v103 offset0:47 offset1:172
	v_mul_f32_e32 v123, v121, v125
	v_mul_f32_e32 v22, v23, v125
	v_fmac_f32_e32 v73, v25, v122
	v_fmac_f32_e32 v140, v24, v79
	ds_read2_b32 v[79:80], v100 offset0:95 offset1:220
	v_fmac_f32_e32 v123, v23, v124
	s_waitcnt vmcnt(7)
	v_mul_f32_e32 v23, v20, v130
	s_waitcnt lgkmcnt(4)
	v_mul_f32_e32 v39, v27, v130
	s_waitcnt vmcnt(6)
	v_mul_f32_e32 v25, v28, v134
	v_fma_f32 v75, v121, v124, -v22
	v_mul_f32_e32 v22, v18, v132
	v_fma_f32 v27, v27, v129, -v23
	v_fmac_f32_e32 v39, v20, v129
	v_mul_f32_e32 v23, v21, v134
	s_waitcnt lgkmcnt(3)
	v_mul_f32_e32 v42, v61, v132
	v_mul_f32_e32 v20, v62, v136
	v_fmac_f32_e32 v25, v21, v133
	s_waitcnt vmcnt(5) lgkmcnt(2)
	v_mul_f32_e32 v70, v63, v143
	v_mul_f32_e32 v21, v19, v136
	s_waitcnt lgkmcnt(1)
	v_mul_f32_e32 v72, v67, v145
	v_fmac_f32_e32 v42, v18, v131
	v_fma_f32 v18, v28, v133, -v23
	v_fmac_f32_e32 v20, v19, v135
	v_mul_f32_e32 v19, v16, v143
	v_fmac_f32_e32 v70, v16, v142
	v_fmac_f32_e32 v72, v14, v144
	v_mul_f32_e32 v14, v14, v145
	s_waitcnt vmcnt(4)
	v_mul_f32_e32 v16, v17, v147
	v_mul_f32_e32 v28, v68, v149
	v_fma_f32 v138, v120, v81, -v29
	v_fma_f32 v29, v61, v131, -v22
	;; [unrolled: 1-line block ×4, first 2 shown]
	v_mul_f32_e32 v26, v15, v149
	v_fma_f32 v23, v64, v146, -v16
	v_fmac_f32_e32 v28, v15, v148
	ds_read2_b32 v[81:82], v102 offset0:77 offset1:202
	ds_read_b32 v134, v114
	ds_read_b32 v124, v115
	ds_read_b32 v22, v116
	ds_read_b32 v19, v117
	ds_read_b32 v16, v118
	ds_read_b32 v67, v95 offset:14500
	ds_read2_b32 v[14:15], v101 offset0:59 offset1:184
	v_mul_f32_e32 v24, v64, v147
	s_waitcnt vmcnt(3)
	v_mul_f32_e32 v63, v69, v151
	v_fma_f32 v21, v62, v135, -v21
	v_mul_f32_e32 v61, v57, v151
	v_fma_f32 v26, v68, v148, -v26
	v_fmac_f32_e32 v24, v17, v146
	s_waitcnt lgkmcnt(8)
	v_mul_f32_e32 v62, v80, v153
	s_waitcnt vmcnt(2)
	v_mul_f32_e32 v17, v79, v155
	v_fma_f32 v57, v57, v150, -v63
	v_mul_f32_e32 v68, v12, v155
	v_mul_f32_e32 v64, v13, v153
	v_fmac_f32_e32 v62, v13, v152
	s_waitcnt vmcnt(1) lgkmcnt(7)
	v_mul_f32_e32 v63, v82, v5
	v_fmac_f32_e32 v17, v12, v154
	v_mul_f32_e32 v13, v81, v157
	v_fma_f32 v12, v79, v154, -v68
	v_mul_f32_e32 v68, v11, v5
	v_fmac_f32_e32 v63, v11, v4
	v_fmac_f32_e32 v61, v69, v150
	s_waitcnt lgkmcnt(0)
	v_mul_f32_e32 v11, v15, v7
	v_mul_f32_e32 v69, v10, v157
	v_fmac_f32_e32 v13, v10, v156
	v_fma_f32 v10, v82, v4, -v68
	v_mul_f32_e32 v68, v9, v7
	s_waitcnt vmcnt(0)
	v_mul_f32_e32 v4, v14, v1
	v_mul_f32_e32 v1, v8, v1
	v_fmac_f32_e32 v11, v9, v6
	v_fma_f32 v64, v80, v152, -v64
	v_fma_f32 v6, v15, v6, -v68
	v_fmac_f32_e32 v4, v8, v0
	v_fma_f32 v0, v14, v0, -v1
	v_add_f32_e32 v1, v62, v63
	v_sub_f32_e32 v8, v61, v62
	v_sub_f32_e32 v14, v11, v63
	v_add_f32_e32 v15, v36, v61
	v_mul_f32_e32 v7, v67, v3
	v_fma_f32 v68, -0.5, v1, v36
	v_mul_f32_e32 v1, v37, v3
	v_add_f32_e32 v3, v8, v14
	v_mov_b32_e32 v8, 0x12c
	v_add_f32_e32 v14, v15, v62
	v_add_f32_e32 v79, v61, v11
	v_fma_f32 v5, v81, v156, -v69
	v_sub_f32_e32 v69, v57, v6
	v_fmac_f32_e32 v7, v37, v2
	v_sub_f32_e32 v37, v64, v10
	v_mul_u32_u24_sdwa v65, v65, v8 dst_sel:DWORD dst_unused:UNUSED_PAD src0_sel:WORD_0 src1_sel:DWORD
	v_add_f32_e32 v14, v14, v63
	v_fmac_f32_e32 v36, -0.5, v79
	v_fmamk_f32 v15, v69, 0xbf737871, v68
	v_fma_f32 v1, v67, v2, -v1
	v_add3_u32 v142, 0, v65, v66
	v_add_f32_e32 v2, v14, v11
	v_sub_f32_e32 v14, v62, v61
	v_sub_f32_e32 v65, v63, v11
	v_fmamk_f32 v66, v37, 0x3f737871, v36
	v_fmac_f32_e32 v36, 0xbf737871, v37
	v_fmac_f32_e32 v15, 0xbf167918, v37
	;; [unrolled: 1-line block ×3, first 2 shown]
	v_add_f32_e32 v14, v14, v65
	v_fmac_f32_e32 v66, 0xbf167918, v69
	v_fmac_f32_e32 v36, 0x3f167918, v69
	v_fmac_f32_e32 v15, 0x3e9e377a, v3
	v_fmac_f32_e32 v68, 0x3f167918, v37
	v_sub_f32_e32 v37, v141, v140
	v_fmac_f32_e32 v66, 0x3e9e377a, v14
	v_fmac_f32_e32 v36, 0x3e9e377a, v14
	v_sub_f32_e32 v14, v128, v77
	ds_read_b32 v9, v95
	s_waitcnt lgkmcnt(0)
	s_barrier
	buffer_gl0_inv
	ds_write2_b32 v142, v2, v15 offset1:15
	ds_write2_b32 v142, v66, v36 offset0:30 offset1:45
	v_add_f32_e32 v2, v77, v140
	v_fmac_f32_e32 v68, 0x3e9e377a, v3
	v_add_f32_e32 v3, v14, v37
	v_mul_u32_u24_sdwa v8, v59, v8 dst_sel:DWORD dst_unused:UNUSED_PAD src0_sel:WORD_0 src1_sel:DWORD
	v_lshlrev_b32_sdwa v14, v119, v60 dst_sel:DWORD dst_unused:UNUSED_PAD src0_sel:DWORD src1_sel:BYTE_0
	v_add_f32_e32 v15, v34, v128
	v_add_f32_e32 v36, v128, v141
	v_fma_f32 v2, -0.5, v2, v34
	v_sub_f32_e32 v37, v76, v138
	v_add3_u32 v8, 0, v8, v14
	v_add_f32_e32 v14, v15, v77
	v_sub_f32_e32 v15, v78, v139
	v_fmac_f32_e32 v34, -0.5, v36
	v_fmamk_f32 v36, v37, 0xbf737871, v2
	v_fmac_f32_e32 v2, 0x3f737871, v37
	v_sub_f32_e32 v59, v77, v128
	v_sub_f32_e32 v60, v140, v141
	v_fmamk_f32 v65, v15, 0x3f737871, v34
	v_fmac_f32_e32 v34, 0xbf737871, v15
	v_fmac_f32_e32 v2, 0x3f167918, v15
	v_add_f32_e32 v14, v14, v140
	v_fmac_f32_e32 v36, 0xbf167918, v15
	v_add_f32_e32 v59, v59, v60
	v_fmac_f32_e32 v65, 0xbf167918, v37
	v_fmac_f32_e32 v34, 0x3f167918, v37
	;; [unrolled: 1-line block ×3, first 2 shown]
	v_add_f32_e32 v14, v14, v141
	v_fmac_f32_e32 v36, 0x3e9e377a, v3
	v_sub_f32_e32 v15, v71, v38
	v_sub_f32_e32 v37, v123, v73
	v_fmac_f32_e32 v65, 0x3e9e377a, v59
	v_fmac_f32_e32 v34, 0x3e9e377a, v59
	ds_write_b32 v142, v68 offset:240
	ds_write2_b32 v8, v14, v36 offset1:15
	ds_write2_b32 v8, v65, v34 offset0:30 offset1:45
	ds_write_b32 v8, v2 offset:240
	v_add_f32_e32 v2, v38, v73
	v_add_f32_e32 v3, v15, v37
	v_lshlrev_b32_sdwa v14, v119, v56 dst_sel:DWORD dst_unused:UNUSED_PAD src0_sel:DWORD src1_sel:WORD_0
	v_mul_u32_u24_e32 v15, 0x12c, v55
	v_add_f32_e32 v36, v71, v123
	v_add_f32_e32 v34, v33, v71
	v_fma_f32 v2, -0.5, v2, v33
	v_sub_f32_e32 v37, v35, v75
	v_add3_u32 v14, 0, v15, v14
	v_sub_f32_e32 v15, v48, v74
	v_fmac_f32_e32 v33, -0.5, v36
	v_add_f32_e32 v34, v34, v38
	v_fmamk_f32 v36, v37, 0xbf737871, v2
	v_sub_f32_e32 v55, v38, v71
	v_sub_f32_e32 v56, v73, v123
	v_fmamk_f32 v59, v15, 0x3f737871, v33
	v_fmac_f32_e32 v33, 0xbf737871, v15
	v_fmac_f32_e32 v2, 0x3f737871, v37
	v_add_f32_e32 v34, v34, v73
	v_fmac_f32_e32 v36, 0xbf167918, v15
	v_add_f32_e32 v55, v55, v56
	v_fmac_f32_e32 v59, 0xbf167918, v37
	v_fmac_f32_e32 v33, 0x3f167918, v37
	;; [unrolled: 1-line block ×3, first 2 shown]
	v_add_f32_e32 v34, v34, v123
	v_fmac_f32_e32 v36, 0x3e9e377a, v3
	v_sub_f32_e32 v15, v39, v42
	v_sub_f32_e32 v37, v72, v70
	v_fmac_f32_e32 v59, 0x3e9e377a, v55
	v_fmac_f32_e32 v33, 0x3e9e377a, v55
	;; [unrolled: 1-line block ×3, first 2 shown]
	v_add_f32_e32 v3, v42, v70
	ds_write2_b32 v14, v34, v36 offset1:15
	ds_write2_b32 v14, v59, v33 offset0:30 offset1:45
	v_add_f32_e32 v15, v15, v37
	v_lshlrev_b32_sdwa v33, v119, v58 dst_sel:DWORD dst_unused:UNUSED_PAD src0_sel:DWORD src1_sel:WORD_0
	v_mul_u32_u24_e32 v34, 0x12c, v54
	v_add_f32_e32 v36, v32, v39
	v_add_f32_e32 v37, v39, v72
	v_fma_f32 v3, -0.5, v3, v32
	v_sub_f32_e32 v54, v27, v49
	v_add3_u32 v33, 0, v34, v33
	v_add_f32_e32 v34, v36, v42
	v_sub_f32_e32 v36, v29, v40
	v_fmac_f32_e32 v32, -0.5, v37
	v_fmamk_f32 v37, v54, 0xbf737871, v3
	v_sub_f32_e32 v55, v42, v39
	v_sub_f32_e32 v56, v70, v72
	v_fmac_f32_e32 v3, 0x3f737871, v54
	v_fmamk_f32 v58, v36, 0x3f737871, v32
	v_fmac_f32_e32 v32, 0xbf737871, v36
	v_add_f32_e32 v34, v34, v70
	v_fmac_f32_e32 v37, 0xbf167918, v36
	v_add_f32_e32 v55, v55, v56
	v_fmac_f32_e32 v58, 0xbf167918, v54
	v_fmac_f32_e32 v32, 0x3f167918, v54
	;; [unrolled: 1-line block ×3, first 2 shown]
	v_add_f32_e32 v34, v34, v72
	v_fmac_f32_e32 v37, 0x3e9e377a, v15
	v_fmac_f32_e32 v58, 0x3e9e377a, v55
	;; [unrolled: 1-line block ×3, first 2 shown]
	v_sub_f32_e32 v36, v25, v20
	v_sub_f32_e32 v54, v28, v24
	v_fmac_f32_e32 v3, 0x3e9e377a, v15
	ds_write_b32 v14, v2 offset:240
	ds_write2_b32 v33, v34, v37 offset1:15
	ds_write2_b32 v33, v58, v32 offset0:30 offset1:45
	v_add_f32_e32 v2, v20, v24
	v_mul_u32_u24_e32 v32, 0x12c, v50
	v_add_f32_e32 v15, v36, v54
	ds_write_b32 v33, v3 offset:240
	v_lshlrev_b32_sdwa v3, v119, v51 dst_sel:DWORD dst_unused:UNUSED_PAD src0_sel:DWORD src1_sel:WORD_0
	v_add_f32_e32 v34, v31, v25
	v_add_f32_e32 v36, v25, v28
	v_fma_f32 v37, -0.5, v2, v31
	v_sub_f32_e32 v50, v18, v26
	v_add3_u32 v2, 0, v32, v3
	v_sub_f32_e32 v3, v21, v23
	v_fmac_f32_e32 v31, -0.5, v36
	v_add_f32_e32 v32, v34, v20
	v_fmamk_f32 v34, v50, 0xbf737871, v37
	v_sub_f32_e32 v36, v20, v25
	v_sub_f32_e32 v51, v24, v28
	v_fmamk_f32 v54, v3, 0x3f737871, v31
	v_fmac_f32_e32 v31, 0xbf737871, v3
	v_add_f32_e32 v32, v32, v24
	v_fmac_f32_e32 v34, 0xbf167918, v3
	v_add_f32_e32 v36, v36, v51
	v_fmac_f32_e32 v54, 0xbf167918, v50
	v_fmac_f32_e32 v31, 0x3f167918, v50
	;; [unrolled: 1-line block ×3, first 2 shown]
	v_add_f32_e32 v32, v32, v28
	v_fmac_f32_e32 v34, 0x3e9e377a, v15
	v_fmac_f32_e32 v54, 0x3e9e377a, v36
	;; [unrolled: 1-line block ×4, first 2 shown]
	v_sub_f32_e32 v3, v17, v13
	v_sub_f32_e32 v36, v7, v4
	ds_write2_b32 v2, v32, v34 offset1:15
	v_add_f32_e32 v32, v13, v4
	ds_write2_b32 v2, v54, v31 offset0:30 offset1:45
	v_fmac_f32_e32 v37, 0x3e9e377a, v15
	v_add_f32_e32 v15, v3, v36
	v_add_f32_e32 v3, v30, v17
	v_fma_f32 v31, -0.5, v32, v30
	v_sub_f32_e32 v32, v12, v1
	v_add_f32_e32 v51, v17, v7
	v_lshlrev_b32_sdwa v34, v119, v53 dst_sel:DWORD dst_unused:UNUSED_PAD src0_sel:DWORD src1_sel:WORD_0
	v_mul_u32_u24_e32 v36, 0x12c, v52
	v_add_f32_e32 v50, v3, v13
	v_fmamk_f32 v52, v32, 0xbf737871, v31
	v_sub_f32_e32 v53, v5, v0
	v_fmac_f32_e32 v30, -0.5, v51
	ds_write_b32 v2, v37 offset:240
	v_add3_u32 v3, 0, v36, v34
	v_add_f32_e32 v34, v50, v4
	v_fmac_f32_e32 v52, 0xbf167918, v53
	v_sub_f32_e32 v36, v13, v17
	v_sub_f32_e32 v37, v4, v7
	v_fmamk_f32 v50, v53, 0x3f737871, v30
	v_fmac_f32_e32 v30, 0xbf737871, v53
	v_fmac_f32_e32 v31, 0x3f737871, v32
	v_add_f32_e32 v34, v34, v7
	v_fmac_f32_e32 v52, 0x3e9e377a, v15
	v_add_f32_e32 v36, v36, v37
	v_fmac_f32_e32 v50, 0xbf167918, v32
	v_fmac_f32_e32 v30, 0x3f167918, v32
	v_fmac_f32_e32 v31, 0x3f167918, v53
	ds_write2_b32 v3, v34, v52 offset1:15
	v_add_f32_e32 v34, v9, v57
	v_fmac_f32_e32 v50, 0x3e9e377a, v36
	v_fmac_f32_e32 v30, 0x3e9e377a, v36
	v_fmac_f32_e32 v31, 0x3e9e377a, v15
	v_add_f32_e32 v32, v64, v10
	v_add_f32_e32 v34, v34, v64
	ds_write2_b32 v3, v50, v30 offset0:30 offset1:45
	ds_write_b32 v3, v31 offset:240
	v_add_f32_e32 v30, v57, v6
	v_sub_f32_e32 v11, v61, v11
	v_fma_f32 v32, -0.5, v32, v9
	v_sub_f32_e32 v37, v62, v63
	v_add_f32_e32 v15, v34, v10
	v_fmac_f32_e32 v9, -0.5, v30
	v_sub_f32_e32 v51, v57, v64
	v_sub_f32_e32 v52, v6, v10
	v_fmamk_f32 v144, v11, 0x3f737871, v32
	v_add_f32_e32 v15, v15, v6
	v_sub_f32_e32 v30, v64, v57
	v_sub_f32_e32 v6, v10, v6
	v_fmamk_f32 v10, v37, 0xbf737871, v9
	v_fmac_f32_e32 v9, 0x3f737871, v37
	v_add_f32_e32 v34, v51, v52
	v_fmac_f32_e32 v144, 0x3f167918, v37
	v_add_f32_e32 v6, v30, v6
	v_fmac_f32_e32 v10, 0x3f167918, v11
	v_fmac_f32_e32 v9, 0xbf167918, v11
	v_lshl_add_u32 v145, v43, 2, 0
	v_fmac_f32_e32 v144, 0x3e9e377a, v34
	v_add_nc_u32_e32 v129, 0x2600, v95
	v_add_nc_u32_e32 v132, 0x1e00, v95
	v_fmac_f32_e32 v32, 0xbf737871, v11
	v_fmac_f32_e32 v10, 0x3e9e377a, v6
	;; [unrolled: 1-line block ×3, first 2 shown]
	v_add_f32_e32 v6, v78, v139
	v_add_nc_u32_e32 v147, 0x1200, v95
	v_add_nc_u32_e32 v130, 0x2a00, v95
	;; [unrolled: 1-line block ×6, first 2 shown]
	s_waitcnt lgkmcnt(0)
	s_barrier
	buffer_gl0_inv
	v_add_nc_u32_e32 v131, 0x2200, v95
	ds_read_b32 v122, v95
	ds_read_b32 v135, v113
	;; [unrolled: 1-line block ×6, first 2 shown]
	ds_read2_b32 v[66:67], v146 offset0:92 offset1:217
	ds_read2_b32 v[62:63], v133 offset0:86 offset1:211
	;; [unrolled: 1-line block ×12, first 2 shown]
	s_waitcnt lgkmcnt(0)
	s_barrier
	v_fmac_f32_e32 v32, 0xbf167918, v37
	buffer_gl0_inv
	ds_write2_b32 v142, v15, v144 offset1:15
	ds_write2_b32 v142, v10, v9 offset0:30 offset1:45
	v_sub_f32_e32 v9, v128, v141
	v_add_f32_e32 v11, v134, v76
	v_fma_f32 v6, -0.5, v6, v134
	v_add_f32_e32 v30, v76, v138
	v_fmac_f32_e32 v32, 0x3e9e377a, v34
	v_sub_f32_e32 v10, v76, v78
	v_sub_f32_e32 v15, v138, v139
	;; [unrolled: 1-line block ×3, first 2 shown]
	v_add_f32_e32 v11, v11, v78
	v_fmamk_f32 v34, v9, 0x3f737871, v6
	v_fmac_f32_e32 v134, -0.5, v30
	v_add_f32_e32 v10, v10, v15
	v_sub_f32_e32 v15, v78, v76
	v_add_f32_e32 v11, v11, v139
	v_fmac_f32_e32 v34, 0x3f167918, v31
	v_sub_f32_e32 v30, v139, v138
	v_fmamk_f32 v36, v31, 0xbf737871, v134
	v_fmac_f32_e32 v134, 0x3f737871, v31
	v_add_f32_e32 v11, v11, v138
	v_fmac_f32_e32 v34, 0x3e9e377a, v10
	v_fmac_f32_e32 v6, 0xbf737871, v9
	v_add_f32_e32 v15, v15, v30
	v_fmac_f32_e32 v36, 0x3f167918, v9
	v_fmac_f32_e32 v134, 0xbf167918, v9
	ds_write_b32 v142, v32 offset:240
	ds_write2_b32 v8, v11, v34 offset1:15
	v_add_f32_e32 v11, v48, v74
	v_fmac_f32_e32 v6, 0xbf167918, v31
	v_add_f32_e32 v31, v35, v75
	v_fmac_f32_e32 v36, 0x3e9e377a, v15
	v_fmac_f32_e32 v134, 0x3e9e377a, v15
	v_sub_f32_e32 v9, v71, v123
	v_sub_f32_e32 v15, v35, v48
	;; [unrolled: 1-line block ×3, first 2 shown]
	v_add_f32_e32 v32, v124, v35
	v_fma_f32 v11, -0.5, v11, v124
	v_sub_f32_e32 v34, v38, v73
	v_fmac_f32_e32 v124, -0.5, v31
	v_add_f32_e32 v15, v15, v30
	v_add_f32_e32 v30, v32, v48
	v_fmamk_f32 v31, v9, 0x3f737871, v11
	v_sub_f32_e32 v32, v48, v35
	v_sub_f32_e32 v35, v74, v75
	v_fmamk_f32 v37, v34, 0xbf737871, v124
	v_fmac_f32_e32 v124, 0x3f737871, v34
	v_fmac_f32_e32 v6, 0x3e9e377a, v10
	v_add_f32_e32 v30, v30, v74
	v_fmac_f32_e32 v31, 0x3f167918, v34
	ds_write2_b32 v8, v36, v134 offset0:30 offset1:45
	ds_write_b32 v8, v6 offset:240
	v_add_f32_e32 v6, v29, v40
	v_add_f32_e32 v32, v32, v35
	v_fmac_f32_e32 v37, 0x3f167918, v9
	v_fmac_f32_e32 v124, 0xbf167918, v9
	v_add_f32_e32 v10, v30, v75
	v_fmac_f32_e32 v31, 0x3e9e377a, v15
	v_fmac_f32_e32 v11, 0xbf737871, v9
	v_add_f32_e32 v8, v22, v27
	v_sub_f32_e32 v9, v39, v72
	v_fma_f32 v6, -0.5, v6, v22
	v_fmac_f32_e32 v37, 0x3e9e377a, v32
	v_fmac_f32_e32 v124, 0x3e9e377a, v32
	v_add_f32_e32 v32, v27, v49
	ds_write2_b32 v14, v10, v31 offset1:15
	ds_write2_b32 v14, v37, v124 offset0:30 offset1:45
	v_fmac_f32_e32 v11, 0xbf167918, v34
	v_sub_f32_e32 v10, v42, v70
	v_add_f32_e32 v8, v8, v29
	v_sub_f32_e32 v30, v27, v29
	v_sub_f32_e32 v31, v49, v40
	v_fmamk_f32 v34, v9, 0x3f737871, v6
	v_fmac_f32_e32 v22, -0.5, v32
	v_add_f32_e32 v8, v8, v40
	v_fmac_f32_e32 v11, 0x3e9e377a, v15
	v_add_f32_e32 v15, v30, v31
	v_fmac_f32_e32 v34, 0x3f167918, v10
	v_fmamk_f32 v30, v10, 0xbf737871, v22
	v_fmac_f32_e32 v22, 0x3f737871, v10
	v_fmac_f32_e32 v6, 0xbf737871, v9
	v_add_f32_e32 v8, v8, v49
	v_fmac_f32_e32 v34, 0x3e9e377a, v15
	v_fmac_f32_e32 v30, 0x3f167918, v9
	;; [unrolled: 1-line block ×4, first 2 shown]
	v_add_f32_e32 v9, v21, v23
	ds_write_b32 v14, v11 offset:240
	ds_write2_b32 v33, v8, v34 offset1:15
	v_add_f32_e32 v14, v18, v26
	v_sub_f32_e32 v8, v25, v28
	v_fmac_f32_e32 v6, 0x3e9e377a, v15
	v_sub_f32_e32 v10, v18, v21
	v_sub_f32_e32 v11, v26, v23
	v_add_f32_e32 v15, v19, v18
	v_fma_f32 v9, -0.5, v9, v19
	v_sub_f32_e32 v20, v20, v24
	v_fmac_f32_e32 v19, -0.5, v14
	v_sub_f32_e32 v27, v29, v27
	v_sub_f32_e32 v29, v40, v49
	v_add_f32_e32 v10, v10, v11
	v_add_f32_e32 v11, v15, v21
	v_fmamk_f32 v14, v8, 0x3f737871, v9
	v_sub_f32_e32 v15, v21, v18
	v_sub_f32_e32 v18, v23, v26
	v_fmamk_f32 v21, v20, 0xbf737871, v19
	v_fmac_f32_e32 v19, 0x3f737871, v20
	v_add_f32_e32 v27, v27, v29
	v_add_f32_e32 v11, v11, v23
	v_fmac_f32_e32 v14, 0x3f167918, v20
	v_fmac_f32_e32 v9, 0xbf737871, v8
	v_add_f32_e32 v15, v15, v18
	v_fmac_f32_e32 v21, 0x3f167918, v8
	v_fmac_f32_e32 v19, 0xbf167918, v8
	;; [unrolled: 1-line block ×4, first 2 shown]
	v_add_f32_e32 v11, v11, v26
	v_fmac_f32_e32 v14, 0x3e9e377a, v10
	v_fmac_f32_e32 v9, 0xbf167918, v20
	;; [unrolled: 1-line block ×4, first 2 shown]
	ds_write2_b32 v33, v30, v22 offset0:30 offset1:45
	ds_write_b32 v33, v6 offset:240
	ds_write2_b32 v2, v11, v14 offset1:15
	ds_write2_b32 v2, v21, v19 offset0:30 offset1:45
	v_add_f32_e32 v8, v16, v12
	v_fmac_f32_e32 v9, 0x3e9e377a, v10
	v_mov_b32_e32 v11, 0xb4e9
	v_sub_f32_e32 v4, v13, v4
	v_sub_f32_e32 v10, v12, v5
	v_add_f32_e32 v8, v8, v5
	v_sub_f32_e32 v13, v1, v0
	ds_write_b32 v2, v9 offset:240
	v_mul_u32_u24_sdwa v2, v85, v11 dst_sel:DWORD dst_unused:UNUSED_PAD src0_sel:WORD_0 src1_sel:DWORD
	v_add_f32_e32 v6, v5, v0
	v_add_f32_e32 v8, v8, v0
	;; [unrolled: 1-line block ×4, first 2 shown]
	v_lshrrev_b32_e32 v2, 16, v2
	v_fma_f32 v6, -0.5, v6, v16
	v_add_f32_e32 v8, v8, v1
	v_sub_f32_e32 v5, v5, v12
	v_sub_f32_e32 v0, v0, v1
	v_mul_lo_u16 v1, 0xdb, v41
	v_fmac_f32_e32 v16, -0.5, v10
	v_sub_nc_u16 v10, v85, v2
	v_sub_f32_e32 v7, v17, v7
	v_add_f32_e32 v0, v5, v0
	v_lshrrev_b16 v140, 14, v1
	v_fmamk_f32 v1, v4, 0xbf737871, v16
	v_lshrrev_b16 v5, 1, v10
	v_fmamk_f32 v14, v7, 0x3f737871, v6
	v_fmac_f32_e32 v16, 0x3f737871, v4
	v_fmac_f32_e32 v6, 0xbf737871, v7
	v_mul_lo_u16 v10, 0x4b, v140
	v_add_nc_u16 v2, v5, v2
	v_fmac_f32_e32 v14, 0x3f167918, v4
	v_fmac_f32_e32 v1, 0x3f167918, v7
	;; [unrolled: 1-line block ×4, first 2 shown]
	v_sub_nc_u16 v141, v84, v10
	v_mov_b32_e32 v4, 9
	v_lshrrev_b16 v138, 6, v2
	v_fmac_f32_e32 v1, 0x3e9e377a, v0
	v_fmac_f32_e32 v16, 0x3e9e377a, v0
	;; [unrolled: 1-line block ×3, first 2 shown]
	v_mul_u32_u24_sdwa v0, v141, v4 dst_sel:DWORD dst_unused:UNUSED_PAD src0_sel:BYTE_0 src1_sel:DWORD
	v_mul_lo_u16 v2, 0x4b, v138
	v_fmac_f32_e32 v6, 0x3e9e377a, v9
	ds_write2_b32 v3, v8, v14 offset1:15
	ds_write2_b32 v3, v1, v16 offset0:30 offset1:45
	ds_write_b32 v3, v6 offset:240
	v_lshlrev_b32_e32 v74, 3, v0
	v_sub_nc_u16 v139, v85, v2
	v_add_nc_u32_e32 v0, 0xffffffb5, v83
	s_waitcnt lgkmcnt(0)
	s_barrier
	buffer_gl0_inv
	v_mul_u32_u24_sdwa v1, v139, v4 dst_sel:DWORD dst_unused:UNUSED_PAD src0_sel:WORD_0 src1_sel:DWORD
	global_load_dwordx4 v[148:151], v74, s[12:13] offset:576
	v_cndmask_b32_e64 v142, v0, v83, s0
	v_mov_b32_e32 v49, 0
	v_lshlrev_b32_e32 v75, 3, v1
	v_mul_i32_i24_e32 v48, 9, v142
	global_load_dwordx4 v[8:11], v75, s[12:13] offset:576
	v_lshlrev_b64 v[0:1], 3, v[48:49]
	v_add_co_u32 v70, s0, s12, v0
	v_add_co_ci_u32_e64 v71, s0, s13, v1, s0
	s_clause 0xc
	global_load_dwordx4 v[0:3], v[70:71], off offset:576
	global_load_dwordx4 v[4:7], v[70:71], off offset:592
	global_load_dwordx4 v[12:15], v74, s[12:13] offset:592
	global_load_dwordx4 v[16:19], v75, s[12:13] offset:592
	global_load_dwordx4 v[20:23], v[70:71], off offset:608
	global_load_dwordx4 v[24:27], v74, s[12:13] offset:608
	global_load_dwordx4 v[28:31], v75, s[12:13] offset:608
	;; [unrolled: 3-line block ×3, first 2 shown]
	global_load_dwordx2 v[72:73], v[70:71], off offset:640
	global_load_dwordx2 v[70:71], v74, s[12:13] offset:640
	global_load_dwordx2 v[74:75], v75, s[12:13] offset:640
	ds_read2_b32 v[152:153], v143 offset0:116 offset1:241
	ds_read2_b32 v[77:78], v97 offset0:107 offset1:232
	ds_read_b32 v144, v116
	ds_read_b32 v145, v145
	;; [unrolled: 1-line block ×3, first 2 shown]
	v_cmp_lt_u32_e64 s0, 0x4a, v83
	s_waitcnt vmcnt(14) lgkmcnt(4)
	v_mul_f32_e32 v123, v152, v149
	v_mul_f32_e32 v76, v79, v149
	s_waitcnt lgkmcnt(3)
	v_mul_f32_e32 v134, v77, v151
	v_fmac_f32_e32 v123, v79, v148
	v_mul_f32_e32 v79, v81, v151
	v_fma_f32 v124, v152, v148, -v76
	v_fmac_f32_e32 v134, v81, v150
	s_waitcnt vmcnt(13)
	v_mul_f32_e32 v48, v153, v9
	v_mul_f32_e32 v81, v78, v11
	v_fma_f32 v128, v77, v150, -v79
	ds_read2_b32 v[76:77], v146 offset0:92 offset1:217
	v_mul_f32_e32 v9, v80, v9
	v_fmac_f32_e32 v48, v80, v8
	v_mul_f32_e32 v146, v82, v11
	ds_read_b32 v11, v115
	v_fmac_f32_e32 v81, v82, v10
	s_waitcnt vmcnt(12) lgkmcnt(4)
	v_mul_f32_e32 v80, v144, v1
	v_mul_f32_e32 v82, v137, v1
	s_waitcnt lgkmcnt(2)
	v_mul_f32_e32 v148, v143, v3
	v_fma_f32 v79, v153, v8, -v9
	ds_read2_b32 v[8:9], v147 offset0:98 offset1:223
	ds_read_b32 v1, v114
	ds_read_b32 v147, v95
	v_fma_f32 v10, v78, v10, -v146
	v_mul_f32_e32 v3, v135, v3
	v_fmac_f32_e32 v80, v137, v0
	v_fma_f32 v78, v144, v0, -v82
	v_fmac_f32_e32 v148, v135, v2
	s_waitcnt vmcnt(11)
	v_mul_f32_e32 v135, v145, v5
	ds_read2_b32 v[149:150], v133 offset0:86 offset1:211
	v_mul_f32_e32 v0, v136, v5
	v_fma_f32 v82, v143, v2, -v3
	s_waitcnt lgkmcnt(5)
	v_mul_f32_e32 v133, v76, v7
	v_fmac_f32_e32 v135, v136, v4
	v_mul_f32_e32 v2, v66, v7
	v_fma_f32 v136, v145, v4, -v0
	ds_read2_b32 v[3:4], v131 offset0:74 offset1:199
	s_waitcnt vmcnt(10)
	v_mul_f32_e32 v0, v67, v15
	v_mul_f32_e32 v5, v68, v13
	v_fmac_f32_e32 v133, v66, v6
	v_mul_f32_e32 v66, v77, v15
	s_waitcnt lgkmcnt(4)
	v_mul_f32_e32 v137, v8, v13
	v_fma_f32 v76, v76, v6, -v2
	v_fma_f32 v13, v77, v14, -v0
	;; [unrolled: 1-line block ×3, first 2 shown]
	s_waitcnt vmcnt(9)
	v_mul_f32_e32 v2, v69, v17
	ds_read2_b32 v[5:6], v132 offset0:80 offset1:205
	v_mul_f32_e32 v7, v62, v19
	v_mul_f32_e32 v131, v9, v17
	v_fmac_f32_e32 v137, v68, v12
	v_fma_f32 v143, v9, v16, -v2
	s_waitcnt vmcnt(8) lgkmcnt(2)
	v_mul_f32_e32 v132, v150, v21
	v_fma_f32 v2, v149, v18, -v7
	ds_read2_b32 v[7:8], v129 offset0:68 offset1:193
	v_fmac_f32_e32 v131, v69, v16
	v_mul_f32_e32 v9, v63, v21
	s_waitcnt lgkmcnt(2)
	v_mul_f32_e32 v16, v3, v23
	v_mul_f32_e32 v12, v60, v23
	s_waitcnt vmcnt(7)
	v_mul_f32_e32 v15, v61, v27
	ds_read2_b32 v[68:69], v127 offset0:56 offset1:181
	v_fmac_f32_e32 v66, v67, v14
	v_fmac_f32_e32 v132, v63, v20
	v_mul_f32_e32 v14, v4, v27
	v_fma_f32 v17, v150, v20, -v9
	v_fmac_f32_e32 v16, v60, v22
	v_fma_f32 v67, v3, v22, -v12
	v_fma_f32 v12, v4, v26, -v15
	v_mul_f32_e32 v3, v64, v25
	s_waitcnt vmcnt(6)
	v_mul_f32_e32 v4, v65, v29
	ds_read2_b32 v[20:21], v130 offset0:62 offset1:187
	ds_read2_b32 v[22:23], v125 offset0:50 offset1:175
	v_fmac_f32_e32 v14, v61, v26
	s_waitcnt lgkmcnt(4)
	v_mul_f32_e32 v26, v5, v25
	v_fma_f32 v63, v5, v24, -v3
	v_fma_f32 v3, v6, v28, -v4
	v_mul_f32_e32 v4, v58, v31
	v_mul_f32_e32 v0, v149, v19
	;; [unrolled: 1-line block ×3, first 2 shown]
	v_fmac_f32_e32 v26, v64, v24
	s_waitcnt lgkmcnt(3)
	v_mul_f32_e32 v5, v7, v31
	s_waitcnt vmcnt(5)
	v_mul_f32_e32 v6, v59, v33
	v_fma_f32 v4, v7, v30, -v4
	ds_read2_b32 v[24:25], v126 offset0:44 offset1:169
	s_waitcnt vmcnt(4)
	v_mul_f32_e32 v7, v55, v39
	v_fmac_f32_e32 v0, v62, v18
	v_fmac_f32_e32 v27, v65, v28
	v_mul_f32_e32 v28, v8, v33
	s_waitcnt lgkmcnt(3)
	v_mul_f32_e32 v19, v68, v35
	v_fma_f32 v18, v8, v32, -v6
	v_mul_f32_e32 v6, v54, v35
	v_mul_f32_e32 v8, v56, v37
	v_fma_f32 v15, v69, v38, -v7
	s_waitcnt vmcnt(3)
	v_mul_f32_e32 v7, v50, v43
	v_fmac_f32_e32 v5, v58, v30
	v_fmac_f32_e32 v28, v59, v32
	v_fmac_f32_e32 v19, v54, v34
	v_fma_f32 v30, v68, v34, -v6
	s_waitcnt lgkmcnt(2)
	v_fma_f32 v54, v20, v36, -v8
	v_mul_f32_e32 v31, v21, v41
	v_mul_f32_e32 v6, v57, v41
	s_waitcnt vmcnt(2) lgkmcnt(1)
	v_mul_f32_e32 v32, v23, v73
	v_fma_f32 v8, v22, v42, -v7
	v_mul_f32_e32 v7, v51, v73
	v_mul_f32_e32 v29, v20, v37
	;; [unrolled: 1-line block ×3, first 2 shown]
	v_fmac_f32_e32 v31, v57, v40
	v_fma_f32 v6, v21, v40, -v6
	v_fmac_f32_e32 v32, v51, v72
	s_waitcnt vmcnt(1)
	v_mul_f32_e32 v22, v52, v71
	s_waitcnt vmcnt(0)
	v_mul_f32_e32 v34, v53, v75
	v_fma_f32 v20, v23, v72, -v7
	v_add_f32_e32 v40, v80, v135
	v_fmac_f32_e32 v9, v50, v42
	s_waitcnt lgkmcnt(0)
	v_mul_f32_e32 v21, v24, v71
	v_mul_f32_e32 v33, v25, v75
	v_fma_f32 v42, v24, v70, -v22
	v_fma_f32 v7, v25, v74, -v34
	v_sub_f32_e32 v22, v148, v133
	v_sub_f32_e32 v23, v19, v16
	;; [unrolled: 1-line block ×6, first 2 shown]
	v_add_f32_e32 v40, v40, v132
	v_mul_f32_e32 v58, v69, v39
	v_fmac_f32_e32 v29, v56, v36
	v_fmac_f32_e32 v33, v53, v74
	v_lshlrev_b32_e32 v36, 2, v142
	v_cndmask_b32_e64 v37, 0, 0xbb8, s0
	v_add_f32_e32 v22, v22, v23
	v_add_f32_e32 v23, v24, v25
	v_add_f32_e32 v24, v34, v35
	v_add_f32_e32 v25, v17, v18
	v_add_f32_e32 v35, v133, v16
	v_add_f32_e32 v40, v40, v28
	v_add_f32_e32 v53, v148, v19
	v_fmac_f32_e32 v58, v55, v38
	v_add3_u32 v43, 0, v37, v36
	v_add_f32_e32 v34, v122, v148
	v_add_f32_e32 v36, v132, v28
	v_fma_f32 v51, -0.5, v25, v78
	v_sub_f32_e32 v25, v135, v32
	v_fma_f32 v35, -0.5, v35, v122
	v_sub_f32_e32 v38, v132, v28
	v_add_f32_e32 v40, v40, v32
	v_fmac_f32_e32 v122, -0.5, v53
	v_sub_f32_e32 v53, v133, v148
	v_sub_f32_e32 v55, v16, v19
	v_add_f32_e32 v61, v135, v32
	v_sub_f32_e32 v28, v28, v32
	v_add_f32_e32 v32, v136, v20
	v_fma_f32 v50, -0.5, v36, v80
	v_add_f32_e32 v64, v53, v55
	v_fmac_f32_e32 v80, -0.5, v61
	v_sub_f32_e32 v55, v132, v135
	v_add_f32_e32 v61, v78, v136
	v_fmac_f32_e32 v78, -0.5, v32
	v_sub_f32_e32 v36, v136, v20
	v_fmamk_f32 v37, v25, 0x3f737871, v51
	v_fmac_f32_e32 v21, v52, v70
	v_sub_f32_e32 v52, v17, v18
	v_add_f32_e32 v28, v55, v28
	v_sub_f32_e32 v32, v17, v136
	v_sub_f32_e32 v65, v18, v20
	v_fmamk_f32 v55, v38, 0xbf737871, v78
	v_fmac_f32_e32 v78, 0x3f737871, v38
	v_fmac_f32_e32 v51, 0xbf737871, v25
	v_sub_f32_e32 v39, v82, v30
	v_fmamk_f32 v41, v36, 0xbf737871, v50
	v_fmac_f32_e32 v37, 0x3f167918, v38
	v_sub_f32_e32 v57, v76, v67
	v_fmamk_f32 v53, v52, 0x3f737871, v80
	v_fmac_f32_e32 v80, 0xbf737871, v52
	v_add_f32_e32 v32, v32, v65
	v_fmac_f32_e32 v55, 0x3f167918, v25
	v_fmac_f32_e32 v78, 0xbf167918, v25
	;; [unrolled: 1-line block ×4, first 2 shown]
	v_add_f32_e32 v34, v34, v133
	v_fmamk_f32 v56, v39, 0xbf737871, v35
	v_fmac_f32_e32 v41, 0xbf167918, v52
	v_fmac_f32_e32 v37, 0x3e9e377a, v24
	v_fmamk_f32 v60, v57, 0x3f737871, v122
	v_fmac_f32_e32 v122, 0xbf737871, v57
	v_fmac_f32_e32 v53, 0xbf167918, v36
	v_fmac_f32_e32 v80, 0x3f167918, v36
	v_fmac_f32_e32 v55, 0x3e9e377a, v32
	v_fmac_f32_e32 v78, 0x3e9e377a, v32
	v_fmac_f32_e32 v35, 0x3f737871, v39
	v_fmac_f32_e32 v50, 0x3f167918, v52
	v_fmac_f32_e32 v51, 0x3e9e377a, v24
	v_add_f32_e32 v34, v34, v16
	v_fmac_f32_e32 v56, 0xbf167918, v57
	v_fmac_f32_e32 v41, 0x3e9e377a, v23
	v_mul_f32_e32 v59, 0xbf167918, v37
	v_fmac_f32_e32 v60, 0xbf167918, v39
	v_fmac_f32_e32 v122, 0x3f167918, v39
	;; [unrolled: 1-line block ×4, first 2 shown]
	v_mul_f32_e32 v24, 0xbf737871, v55
	v_mul_f32_e32 v25, 0xbf737871, v78
	v_fmac_f32_e32 v35, 0x3f167918, v57
	v_fmac_f32_e32 v50, 0x3e9e377a, v23
	v_mul_f32_e32 v23, 0xbf167918, v51
	v_add_f32_e32 v34, v34, v19
	v_fmac_f32_e32 v56, 0x3e9e377a, v22
	v_fmac_f32_e32 v59, 0x3f4f1bbd, v41
	;; [unrolled: 1-line block ×8, first 2 shown]
	v_add_f32_e32 v62, v34, v40
	v_add_f32_e32 v22, v56, v59
	;; [unrolled: 1-line block ×5, first 2 shown]
	v_sub_f32_e32 v34, v34, v40
	v_add_f32_e32 v36, v35, v23
	v_add_nc_u32_e32 v57, 0x400, v43
	v_sub_f32_e32 v38, v56, v59
	v_sub_f32_e32 v24, v60, v24
	v_add_nc_u32_e32 v56, 0x600, v43
	v_sub_f32_e32 v25, v122, v25
	v_sub_f32_e32 v23, v35, v23
	v_add_nc_u32_e32 v64, 0x800, v43
	s_barrier
	buffer_gl0_inv
	ds_write2_b32 v43, v62, v22 offset1:75
	ds_write2_b32 v43, v28, v32 offset0:150 offset1:225
	ds_write2_b32 v57, v36, v34 offset0:44 offset1:119
	;; [unrolled: 1-line block ×4, first 2 shown]
	v_sub_f32_e32 v22, v134, v66
	v_sub_f32_e32 v23, v58, v14
	;; [unrolled: 1-line block ×3, first 2 shown]
	v_mov_b32_e32 v25, 0xbb8
	v_sub_f32_e32 v28, v21, v29
	v_sub_f32_e32 v32, v77, v63
	;; [unrolled: 1-line block ×3, first 2 shown]
	v_add_f32_e32 v39, v39, v26
	v_add_f32_e32 v22, v22, v23
	v_mul_u32_u24_sdwa v23, v140, v25 dst_sel:DWORD dst_unused:UNUSED_PAD src0_sel:WORD_0 src1_sel:DWORD
	v_lshlrev_b32_sdwa v35, v119, v141 dst_sel:DWORD dst_unused:UNUSED_PAD src0_sel:DWORD src1_sel:BYTE_0
	v_add_f32_e32 v24, v24, v28
	v_add_f32_e32 v28, v32, v34
	;; [unrolled: 1-line block ×4, first 2 shown]
	v_add3_u32 v52, 0, v23, v35
	v_add_f32_e32 v35, v26, v29
	v_sub_f32_e32 v38, v26, v29
	v_fma_f32 v65, -0.5, v34, v124
	v_sub_f32_e32 v34, v137, v21
	v_add_f32_e32 v39, v39, v21
	v_add_f32_e32 v75, v137, v21
	v_sub_f32_e32 v21, v29, v21
	v_add_f32_e32 v29, v77, v42
	v_add_f32_e32 v23, v66, v14
	v_fma_f32 v68, -0.5, v35, v123
	v_add_f32_e32 v62, v134, v58
	v_fmac_f32_e32 v123, -0.5, v75
	v_sub_f32_e32 v26, v26, v137
	v_add_f32_e32 v75, v124, v77
	v_fmac_f32_e32 v124, -0.5, v29
	v_sub_f32_e32 v35, v77, v42
	v_fmamk_f32 v69, v34, 0x3f737871, v65
	v_add_f32_e32 v32, v121, v134
	v_fma_f32 v23, -0.5, v23, v121
	v_sub_f32_e32 v40, v63, v54
	v_fmac_f32_e32 v121, -0.5, v62
	v_sub_f32_e32 v62, v66, v134
	v_sub_f32_e32 v72, v14, v58
	v_add_f32_e32 v21, v26, v21
	v_sub_f32_e32 v26, v63, v77
	v_sub_f32_e32 v29, v54, v42
	v_fmamk_f32 v77, v38, 0xbf737871, v124
	v_fmac_f32_e32 v124, 0x3f737871, v38
	v_sub_f32_e32 v36, v128, v15
	v_fmamk_f32 v70, v35, 0xbf737871, v68
	v_fmac_f32_e32 v69, 0x3f167918, v38
	v_fmac_f32_e32 v65, 0xbf737871, v34
	v_sub_f32_e32 v60, v13, v12
	v_add_f32_e32 v62, v62, v72
	v_fmamk_f32 v72, v40, 0x3f737871, v123
	v_fmac_f32_e32 v123, 0xbf737871, v40
	v_add_f32_e32 v26, v26, v29
	v_fmac_f32_e32 v77, 0x3f167918, v34
	v_fmac_f32_e32 v124, 0xbf167918, v34
	v_add_f32_e32 v32, v32, v66
	v_fmamk_f32 v59, v36, 0xbf737871, v23
	v_fmac_f32_e32 v70, 0xbf167918, v40
	v_fmac_f32_e32 v69, 0x3e9e377a, v28
	;; [unrolled: 1-line block ×4, first 2 shown]
	v_fmamk_f32 v74, v60, 0x3f737871, v121
	v_fmac_f32_e32 v121, 0xbf737871, v60
	v_fmac_f32_e32 v72, 0xbf167918, v35
	;; [unrolled: 1-line block ×5, first 2 shown]
	v_add_f32_e32 v32, v32, v14
	v_fmac_f32_e32 v59, 0xbf167918, v60
	v_fmac_f32_e32 v70, 0x3e9e377a, v24
	v_mul_f32_e32 v71, 0xbf167918, v69
	v_fmac_f32_e32 v23, 0x3f737871, v36
	v_fmac_f32_e32 v68, 0x3f167918, v40
	;; [unrolled: 1-line block ×7, first 2 shown]
	v_mul_f32_e32 v21, 0xbf737871, v77
	v_mul_f32_e32 v26, 0xbf737871, v124
	v_add_f32_e32 v32, v32, v58
	v_fmac_f32_e32 v59, 0x3e9e377a, v22
	v_fmac_f32_e32 v71, 0x3f4f1bbd, v70
	;; [unrolled: 1-line block ×4, first 2 shown]
	v_mul_f32_e32 v24, 0xbf167918, v65
	v_fmac_f32_e32 v74, 0x3e9e377a, v62
	v_fmac_f32_e32 v121, 0x3e9e377a, v62
	v_fmac_f32_e32 v21, 0x3e9e377a, v72
	v_fmac_f32_e32 v26, 0xbe9e377a, v123
	v_add_f32_e32 v73, v32, v39
	v_add_f32_e32 v122, v59, v71
	v_fmac_f32_e32 v23, 0x3e9e377a, v22
	v_fmac_f32_e32 v24, 0xbf4f1bbd, v68
	v_add_f32_e32 v22, v74, v21
	v_add_f32_e32 v28, v121, v26
	ds_write2_b32 v52, v73, v122 offset1:75
	v_sub_f32_e32 v29, v32, v39
	v_add_f32_e32 v32, v23, v24
	v_add_nc_u32_e32 v73, 0x400, v52
	ds_write2_b32 v52, v22, v28 offset0:150 offset1:225
	ds_write2_b32 v73, v32, v29 offset0:44 offset1:119
	v_mul_u32_u24_sdwa v25, v138, v25 dst_sel:DWORD dst_unused:UNUSED_PAD src0_sel:WORD_0 src1_sel:DWORD
	v_lshlrev_b32_sdwa v32, v119, v139 dst_sel:DWORD dst_unused:UNUSED_PAD src0_sel:DWORD src1_sel:WORD_0
	v_sub_f32_e32 v34, v59, v71
	v_sub_f32_e32 v21, v74, v21
	v_add_nc_u32_e32 v71, 0x600, v52
	v_sub_f32_e32 v22, v81, v0
	v_add3_u32 v119, 0, v25, v32
	v_add_f32_e32 v32, v48, v131
	v_add_f32_e32 v25, v3, v6
	v_sub_f32_e32 v28, v9, v5
	ds_write2_b32 v71, v34, v21 offset0:66 offset1:141
	v_sub_f32_e32 v21, v121, v26
	v_add_f32_e32 v32, v32, v27
	v_sub_f32_e32 v26, v33, v31
	v_add_f32_e32 v34, v27, v31
	v_fma_f32 v121, -0.5, v25, v79
	v_sub_f32_e32 v25, v131, v33
	v_add_f32_e32 v32, v32, v31
	v_sub_f32_e32 v36, v27, v31
	v_add_f32_e32 v129, v131, v33
	v_sub_f32_e32 v31, v31, v33
	v_add_f32_e32 v22, v22, v28
	v_add_f32_e32 v32, v32, v33
	v_add_f32_e32 v33, v143, v7
	v_sub_f32_e32 v28, v143, v3
	v_sub_f32_e32 v29, v7, v6
	;; [unrolled: 1-line block ×5, first 2 shown]
	v_add_f32_e32 v130, v79, v143
	v_fmac_f32_e32 v79, -0.5, v33
	v_add_f32_e32 v28, v28, v29
	v_add_f32_e32 v29, v0, v5
	v_fma_f32 v122, -0.5, v34, v48
	v_sub_f32_e32 v34, v143, v7
	v_fmamk_f32 v125, v25, 0x3f737871, v121
	v_sub_f32_e32 v40, v3, v6
	v_add_f32_e32 v59, v81, v9
	v_fmac_f32_e32 v48, -0.5, v129
	v_add_f32_e32 v27, v27, v31
	v_sub_f32_e32 v31, v3, v143
	v_sub_f32_e32 v33, v6, v7
	v_fmamk_f32 v131, v36, 0xbf737871, v79
	v_fmac_f32_e32 v79, 0x3f737871, v36
	v_fmac_f32_e32 v121, 0xbf737871, v25
	v_add_f32_e32 v24, v24, v26
	v_add_f32_e32 v26, v120, v81
	v_fma_f32 v29, -0.5, v29, v120
	v_sub_f32_e32 v35, v10, v8
	v_fmamk_f32 v126, v34, 0xbf737871, v122
	v_fmac_f32_e32 v125, 0x3f167918, v36
	v_sub_f32_e32 v39, v2, v4
	v_fmac_f32_e32 v120, -0.5, v59
	v_fmamk_f32 v129, v40, 0x3f737871, v48
	v_fmac_f32_e32 v48, 0xbf737871, v40
	v_add_f32_e32 v31, v31, v33
	v_fmac_f32_e32 v131, 0x3f167918, v25
	v_fmac_f32_e32 v79, 0xbf167918, v25
	;; [unrolled: 1-line block ×4, first 2 shown]
	v_add_f32_e32 v26, v26, v0
	v_fmamk_f32 v38, v35, 0xbf737871, v29
	v_fmac_f32_e32 v126, 0xbf167918, v40
	v_fmac_f32_e32 v125, 0x3e9e377a, v28
	v_sub_f32_e32 v59, v0, v81
	v_sub_f32_e32 v62, v5, v9
	v_fmamk_f32 v127, v39, 0x3f737871, v120
	v_fmac_f32_e32 v120, 0xbf737871, v39
	v_fmac_f32_e32 v129, 0xbf167918, v34
	v_fmac_f32_e32 v48, 0x3f167918, v34
	v_fmac_f32_e32 v131, 0x3e9e377a, v31
	v_fmac_f32_e32 v79, 0x3e9e377a, v31
	v_fmac_f32_e32 v29, 0x3f737871, v35
	v_fmac_f32_e32 v122, 0x3f167918, v40
	v_fmac_f32_e32 v121, 0x3e9e377a, v28
	v_add_f32_e32 v26, v26, v5
	v_fmac_f32_e32 v38, 0xbf167918, v39
	v_fmac_f32_e32 v126, 0x3e9e377a, v24
	v_mul_f32_e32 v60, 0xbf167918, v125
	v_add_f32_e32 v59, v59, v62
	v_fmac_f32_e32 v127, 0xbf167918, v35
	v_fmac_f32_e32 v120, 0x3f167918, v35
	;; [unrolled: 1-line block ×4, first 2 shown]
	v_mul_f32_e32 v25, 0xbf737871, v131
	v_mul_f32_e32 v27, 0xbf737871, v79
	v_fmac_f32_e32 v29, 0x3f167918, v39
	v_fmac_f32_e32 v122, 0x3e9e377a, v24
	v_mul_f32_e32 v24, 0xbf167918, v121
	v_add_f32_e32 v26, v26, v9
	v_fmac_f32_e32 v38, 0x3e9e377a, v22
	v_fmac_f32_e32 v60, 0x3f4f1bbd, v126
	v_fmac_f32_e32 v127, 0x3e9e377a, v59
	v_fmac_f32_e32 v120, 0x3e9e377a, v59
	v_fmac_f32_e32 v25, 0x3e9e377a, v129
	v_fmac_f32_e32 v27, 0xbe9e377a, v48
	v_fmac_f32_e32 v29, 0x3e9e377a, v22
	v_fmac_f32_e32 v24, 0xbf4f1bbd, v122
	v_add_nc_u32_e32 v74, 0x800, v52
	v_add_f32_e32 v62, v26, v32
	v_add_f32_e32 v22, v38, v60
	;; [unrolled: 1-line block ×4, first 2 shown]
	v_sub_f32_e32 v26, v26, v32
	v_add_f32_e32 v32, v29, v24
	v_add_nc_u32_e32 v132, 0x400, v119
	v_sub_f32_e32 v33, v38, v60
	v_sub_f32_e32 v25, v127, v25
	v_add_nc_u32_e32 v127, 0x600, v119
	ds_write2_b32 v74, v21, v23 offset0:88 offset1:163
	ds_write2_b32 v119, v62, v22 offset1:75
	ds_write2_b32 v119, v28, v31 offset0:150 offset1:225
	ds_write2_b32 v132, v32, v26 offset0:44 offset1:119
	;; [unrolled: 1-line block ×3, first 2 shown]
	v_add_f32_e32 v23, v76, v67
	v_add_f32_e32 v31, v82, v30
	v_sub_f32_e32 v135, v148, v19
	v_add_f32_e32 v19, v147, v82
	v_sub_f32_e32 v133, v133, v16
	v_fma_f32 v136, -0.5, v23, v147
	v_fmac_f32_e32 v147, -0.5, v31
	v_sub_f32_e32 v22, v29, v24
	v_add_f32_e32 v17, v61, v17
	v_sub_f32_e32 v23, v82, v76
	v_sub_f32_e32 v24, v30, v67
	v_add_f32_e32 v16, v19, v76
	v_fmamk_f32 v137, v135, 0x3f737871, v136
	v_mul_f32_e32 v139, 0x3f4f1bbd, v37
	v_sub_f32_e32 v36, v76, v82
	v_sub_f32_e32 v37, v67, v30
	v_fmamk_f32 v76, v133, 0xbf737871, v147
	v_fmac_f32_e32 v147, 0x3f737871, v133
	v_fmac_f32_e32 v136, 0xbf737871, v135
	v_add_f32_e32 v17, v17, v18
	v_add_f32_e32 v138, v23, v24
	;; [unrolled: 1-line block ×3, first 2 shown]
	v_fmac_f32_e32 v137, 0x3f167918, v133
	v_add_f32_e32 v67, v36, v37
	v_fmac_f32_e32 v76, 0x3f167918, v135
	v_fmac_f32_e32 v147, 0xbf167918, v135
	v_mul_f32_e32 v55, 0x3e9e377a, v55
	v_mul_f32_e32 v78, 0xbe9e377a, v78
	v_fmac_f32_e32 v136, 0xbf167918, v133
	v_mul_f32_e32 v51, 0xbf4f1bbd, v51
	v_add_f32_e32 v140, v17, v20
	v_fmac_f32_e32 v139, 0x3f167918, v41
	v_add_f32_e32 v141, v16, v30
	v_fmac_f32_e32 v137, 0x3e9e377a, v138
	v_fmac_f32_e32 v76, 0x3e9e377a, v67
	;; [unrolled: 1-line block ×5, first 2 shown]
	v_sub_f32_e32 v21, v120, v27
	v_add_nc_u32_e32 v120, 0x800, v119
	v_fmac_f32_e32 v136, 0x3e9e377a, v138
	v_fmac_f32_e32 v51, 0x3f167918, v50
	v_add_f32_e32 v82, v141, v140
	v_add_f32_e32 v50, v137, v139
	;; [unrolled: 1-line block ×4, first 2 shown]
	ds_write2_b32 v120, v21, v22 offset0:88 offset1:163
	s_waitcnt lgkmcnt(0)
	s_barrier
	buffer_gl0_inv
	ds_read_b32 v62, v115
	ds_read_b32 v39, v116
	;; [unrolled: 1-line block ×7, first 2 shown]
	ds_read_b32 v41, v95 offset:14500
	ds_read2_b32 v[18:19], v100 offset0:95 offset1:220
	ds_read2_b32 v[20:21], v102 offset0:77 offset1:202
	;; [unrolled: 1-line block ×5, first 2 shown]
	v_sub_f32_e32 v80, v141, v140
	v_add_f32_e32 v113, v136, v51
	v_sub_f32_e32 v114, v137, v139
	v_sub_f32_e32 v55, v76, v55
	;; [unrolled: 1-line block ×4, first 2 shown]
	ds_read2_b32 v[28:29], v98 offset0:71 offset1:196
	ds_read2_b32 v[26:27], v96 offset0:53 offset1:178
	;; [unrolled: 1-line block ×6, first 2 shown]
	s_waitcnt lgkmcnt(0)
	s_barrier
	buffer_gl0_inv
	ds_write2_b32 v43, v82, v50 offset1:75
	ds_write2_b32 v43, v53, v67 offset0:150 offset1:225
	ds_write2_b32 v57, v113, v80 offset0:44 offset1:119
	;; [unrolled: 1-line block ×4, first 2 shown]
	v_add_f32_e32 v51, v13, v12
	v_sub_f32_e32 v53, v128, v13
	v_sub_f32_e32 v55, v15, v12
	v_add_f32_e32 v43, v75, v63
	v_sub_f32_e32 v50, v134, v58
	v_add_f32_e32 v56, v1, v128
	v_fma_f32 v51, -0.5, v51, v1
	v_add_f32_e32 v53, v53, v55
	v_add_f32_e32 v55, v128, v15
	v_sub_f32_e32 v14, v66, v14
	v_add_f32_e32 v43, v43, v54
	v_add_f32_e32 v54, v56, v13
	v_fmamk_f32 v56, v50, 0x3f737871, v51
	v_fmac_f32_e32 v1, -0.5, v55
	v_sub_f32_e32 v13, v13, v128
	v_add_f32_e32 v42, v43, v42
	v_mul_f32_e32 v43, 0x3f4f1bbd, v69
	v_add_f32_e32 v54, v54, v12
	v_fmac_f32_e32 v56, 0x3f167918, v14
	v_sub_f32_e32 v12, v12, v15
	v_fmamk_f32 v55, v14, 0xbf737871, v1
	v_fmac_f32_e32 v1, 0x3f737871, v14
	v_fmac_f32_e32 v51, 0xbf737871, v50
	;; [unrolled: 1-line block ×3, first 2 shown]
	v_add_f32_e32 v15, v54, v15
	v_fmac_f32_e32 v56, 0x3e9e377a, v53
	v_add_f32_e32 v12, v13, v12
	v_fmac_f32_e32 v55, 0x3f167918, v50
	v_fmac_f32_e32 v1, 0xbf167918, v50
	v_mul_f32_e32 v50, 0x3e9e377a, v77
	v_mul_f32_e32 v57, 0xbe9e377a, v124
	v_fmac_f32_e32 v51, 0xbf167918, v14
	v_mul_f32_e32 v14, 0xbf4f1bbd, v65
	v_add_f32_e32 v13, v15, v42
	v_add_f32_e32 v54, v56, v43
	v_fmac_f32_e32 v55, 0x3e9e377a, v12
	v_fmac_f32_e32 v1, 0x3e9e377a, v12
	;; [unrolled: 1-line block ×6, first 2 shown]
	ds_write2_b32 v52, v13, v54 offset1:75
	v_add_f32_e32 v12, v55, v50
	v_add_f32_e32 v13, v1, v57
	v_sub_f32_e32 v15, v15, v42
	v_add_f32_e32 v42, v51, v14
	v_sub_f32_e32 v43, v56, v43
	v_sub_f32_e32 v50, v55, v50
	ds_write2_b32 v52, v12, v13 offset0:150 offset1:225
	ds_write2_b32 v73, v42, v15 offset0:44 offset1:119
	v_add_f32_e32 v12, v11, v10
	v_sub_f32_e32 v1, v1, v57
	v_sub_f32_e32 v14, v51, v14
	ds_write2_b32 v71, v43, v50 offset0:66 offset1:141
	ds_write2_b32 v74, v1, v14 offset0:88 offset1:163
	v_add_f32_e32 v12, v12, v2
	v_add_f32_e32 v14, v2, v4
	v_add_f32_e32 v15, v10, v8
	v_sub_f32_e32 v1, v81, v9
	v_sub_f32_e32 v0, v0, v5
	v_add_f32_e32 v5, v12, v4
	v_fma_f32 v12, -0.5, v14, v11
	v_fmac_f32_e32 v11, -0.5, v15
	v_sub_f32_e32 v9, v10, v2
	v_sub_f32_e32 v13, v8, v4
	;; [unrolled: 1-line block ×3, first 2 shown]
	v_add_f32_e32 v5, v5, v8
	v_sub_f32_e32 v4, v4, v8
	v_fmamk_f32 v8, v1, 0x3f737871, v12
	v_fmac_f32_e32 v12, 0xbf737871, v1
	v_fmamk_f32 v10, v0, 0xbf737871, v11
	v_fmac_f32_e32 v11, 0x3f737871, v0
	v_add_f32_e32 v3, v130, v3
	v_fmac_f32_e32 v8, 0x3f167918, v0
	v_fmac_f32_e32 v12, 0xbf167918, v0
	v_add_f32_e32 v0, v2, v4
	v_fmac_f32_e32 v10, 0x3f167918, v1
	v_fmac_f32_e32 v11, 0xbf167918, v1
	v_add_f32_e32 v9, v9, v13
	v_add_f32_e32 v1, v3, v6
	v_mul_f32_e32 v2, 0x3e9e377a, v131
	v_fmac_f32_e32 v10, 0x3e9e377a, v0
	v_fmac_f32_e32 v11, 0x3e9e377a, v0
	v_mul_f32_e32 v0, 0x3f4f1bbd, v125
	v_mul_f32_e32 v3, 0xbe9e377a, v79
	;; [unrolled: 1-line block ×3, first 2 shown]
	v_fmac_f32_e32 v8, 0x3e9e377a, v9
	v_add_f32_e32 v1, v1, v7
	v_fmac_f32_e32 v0, 0x3f167918, v126
	v_fmac_f32_e32 v2, 0x3f737871, v129
	;; [unrolled: 1-line block ×5, first 2 shown]
	v_add_f32_e32 v6, v5, v1
	v_sub_f32_e32 v1, v5, v1
	v_add_f32_e32 v5, v8, v0
	v_sub_f32_e32 v0, v8, v0
	v_add_f32_e32 v7, v10, v2
	v_add_f32_e32 v8, v11, v3
	;; [unrolled: 1-line block ×3, first 2 shown]
	v_sub_f32_e32 v2, v10, v2
	v_sub_f32_e32 v3, v11, v3
	;; [unrolled: 1-line block ×3, first 2 shown]
	ds_write2_b32 v119, v6, v5 offset1:75
	ds_write2_b32 v119, v7, v8 offset0:150 offset1:225
	ds_write2_b32 v132, v9, v1 offset0:44 offset1:119
	;; [unrolled: 1-line block ×4, first 2 shown]
	s_waitcnt lgkmcnt(0)
	s_barrier
	buffer_gl0_inv
	s_and_saveexec_b32 s0, vcc_lo
	s_cbranch_execz .LBB0_15
; %bb.14:
	v_lshlrev_b32_e32 v48, 2, v90
	v_sub_nc_u32_e32 v63, 0, v107
	v_sub_nc_u32_e32 v64, 0, v108
	;; [unrolled: 1-line block ×4, first 2 shown]
	v_lshlrev_b64 v[0:1], 3, v[48:49]
	v_lshlrev_b32_e32 v48, 2, v87
	v_sub_nc_u32_e32 v113, 0, v111
	v_add_nc_u32_e32 v90, v92, v90
	v_add_nc_u32_e32 v94, v94, v112
	v_mul_lo_u32 v114, s5, v46
	v_add_co_u32 v2, vcc_lo, s12, v0
	v_add_co_ci_u32_e32 v3, vcc_lo, s13, v1, vcc_lo
	v_lshlrev_b64 v[4:5], 3, v[48:49]
	v_add_co_u32 v0, vcc_lo, 0x1000, v2
	v_add_co_ci_u32_e32 v1, vcc_lo, 0, v3, vcc_lo
	v_add_co_u32 v2, vcc_lo, 0x1758, v2
	v_add_co_ci_u32_e32 v3, vcc_lo, 0, v3, vcc_lo
	v_lshlrev_b32_e32 v48, 2, v86
	s_clause 0x1
	global_load_dwordx4 v[8:11], v[0:1], off offset:1880
	global_load_dwordx4 v[12:15], v[2:3], off offset:16
	v_add_co_u32 v2, vcc_lo, s12, v4
	v_add_co_ci_u32_e32 v3, vcc_lo, s13, v5, vcc_lo
	v_lshlrev_b64 v[42:43], 3, v[48:49]
	v_add_co_u32 v0, vcc_lo, 0x1000, v2
	v_add_co_ci_u32_e32 v1, vcc_lo, 0, v3, vcc_lo
	v_add_co_u32 v4, vcc_lo, 0x1758, v2
	v_add_co_ci_u32_e32 v5, vcc_lo, 0, v3, vcc_lo
	;; [unrolled: 2-line block ×3, first 2 shown]
	s_clause 0x1
	global_load_dwordx4 v[0:3], v[0:1], off offset:1880
	global_load_dwordx4 v[4:7], v[4:5], off offset:16
	v_add_co_u32 v42, vcc_lo, 0x1000, v48
	v_add_co_ci_u32_e32 v43, vcc_lo, 0, v50, vcc_lo
	v_add_co_u32 v54, vcc_lo, 0x1758, v48
	v_lshlrev_b32_e32 v48, 2, v85
	v_add_co_ci_u32_e32 v55, vcc_lo, 0, v50, vcc_lo
	s_clause 0x1
	global_load_dwordx4 v[50:53], v[42:43], off offset:1880
	global_load_dwordx4 v[65:68], v[54:55], off offset:16
	v_lshlrev_b64 v[42:43], 3, v[48:49]
	v_mul_lo_u32 v115, s4, v47
	v_mad_u64_u32 v[46:47], null, s4, v46, 0
	v_add_nc_u32_e32 v93, v93, v113
	v_add_co_u32 v48, vcc_lo, s12, v42
	v_add_co_ci_u32_e32 v55, vcc_lo, s13, v43, vcc_lo
	v_add3_u32 v47, v47, v115, v114
	v_add_co_u32 v42, vcc_lo, 0x1000, v48
	v_add_co_ci_u32_e32 v43, vcc_lo, 0, v55, vcc_lo
	v_add_co_u32 v54, vcc_lo, 0x1758, v48
	v_add_co_ci_u32_e32 v55, vcc_lo, 0, v55, vcc_lo
	s_clause 0x1
	global_load_dwordx4 v[69:72], v[42:43], off offset:1880
	global_load_dwordx4 v[73:76], v[54:55], off offset:16
	v_lshlrev_b32_e32 v48, 2, v84
	v_sub_nc_u32_e32 v54, 0, v109
	ds_read2_b32 v[42:43], v102 offset0:77 offset1:202
	ds_read2_b32 v[57:58], v100 offset0:95 offset1:220
	;; [unrolled: 1-line block ×6, first 2 shown]
	v_lshlrev_b64 v[77:78], 3, v[48:49]
	ds_read2_b32 v[102:103], v103 offset0:47 offset1:172
	v_add_nc_u32_e32 v54, v91, v54
	v_add_co_u32 v48, vcc_lo, s12, v77
	v_add_co_ci_u32_e32 v79, vcc_lo, s13, v78, vcc_lo
	v_add_co_u32 v77, vcc_lo, 0x1000, v48
	v_add_co_ci_u32_e32 v78, vcc_lo, 0, v79, vcc_lo
	;; [unrolled: 2-line block ×3, first 2 shown]
	global_load_dwordx4 v[77:80], v[77:78], off offset:1880
	ds_read2_b32 v[106:107], v99 offset0:89 offset1:214
	ds_read2_b32 v[108:109], v97 offset0:107 offset1:232
	v_lshlrev_b32_e32 v48, 2, v83
	global_load_dwordx4 v[84:87], v[84:85], off offset:16
	ds_read2_b32 v[98:99], v98 offset0:71 offset1:196
	ds_read2_b32 v[110:111], v96 offset0:53 offset1:178
	ds_read_b32 v116, v95 offset:14500
	ds_read_b32 v117, v95
	ds_read_b32 v112, v94
	v_lshlrev_b64 v[48:49], 3, v[48:49]
	ds_read_b32 v113, v93
	ds_read_b32 v114, v90
	;; [unrolled: 1-line block ×3, first 2 shown]
	v_add_co_u32 v91, vcc_lo, s12, v48
	v_add_co_ci_u32_e32 v92, vcc_lo, s13, v49, vcc_lo
	v_add_co_u32 v48, vcc_lo, 0x1000, v91
	v_add_co_ci_u32_e32 v49, vcc_lo, 0, v92, vcc_lo
	;; [unrolled: 2-line block ×3, first 2 shown]
	s_clause 0x1
	global_load_dwordx4 v[90:93], v[48:49], off offset:1880
	global_load_dwordx4 v[94:97], v[94:95], off offset:16
	s_waitcnt vmcnt(11)
	v_mul_f32_e32 v48, v20, v11
	v_mul_f32_e32 v49, v18, v9
	s_waitcnt vmcnt(10)
	v_mul_f32_e32 v115, v16, v13
	s_waitcnt lgkmcnt(14)
	v_mul_f32_e32 v13, v55, v13
	v_mul_f32_e32 v9, v57, v9
	;; [unrolled: 1-line block ×4, first 2 shown]
	s_waitcnt lgkmcnt(5)
	v_mul_f32_e32 v119, v116, v15
	v_fma_f32 v15, v10, v42, -v48
	v_fma_f32 v42, v8, v57, -v49
	;; [unrolled: 1-line block ×3, first 2 shown]
	v_fmac_f32_e32 v13, v16, v12
	v_fmac_f32_e32 v9, v18, v8
	v_fma_f32 v49, v14, v116, -v118
	v_fmac_f32_e32 v11, v20, v10
	v_fmac_f32_e32 v119, v41, v14
	s_waitcnt lgkmcnt(3)
	v_add_f32_e32 v118, v42, v112
	v_sub_f32_e32 v57, v42, v15
	s_waitcnt vmcnt(9)
	v_mul_f32_e32 v8, v33, v3
	s_waitcnt vmcnt(8)
	v_mul_f32_e32 v12, v35, v5
	v_mul_f32_e32 v18, v105, v5
	;; [unrolled: 1-line block ×7, first 2 shown]
	v_fma_f32 v8, v2, v82, -v8
	v_fma_f32 v82, v4, v105, -v12
	v_fmac_f32_e32 v18, v35, v4
	v_fmac_f32_e32 v5, v31, v0
	s_waitcnt vmcnt(7)
	v_mul_f32_e32 v4, v32, v53
	s_waitcnt vmcnt(6)
	v_mul_f32_e32 v12, v34, v66
	v_mul_f32_e32 v31, v81, v53
	;; [unrolled: 1-line block ×4, first 2 shown]
	v_sub_f32_e32 v1, v15, v42
	v_sub_f32_e32 v3, v48, v49
	v_add_f32_e32 v7, v42, v49
	v_sub_f32_e32 v55, v9, v119
	v_sub_f32_e32 v115, v49, v48
	v_add_f32_e32 v116, v15, v48
	v_sub_f32_e32 v120, v11, v9
	v_add_f32_e32 v122, v9, v119
	v_sub_f32_e32 v123, v15, v48
	v_sub_f32_e32 v124, v9, v11
	;; [unrolled: 1-line block ×3, first 2 shown]
	v_add_f32_e32 v126, v11, v13
	v_add_f32_e32 v9, v40, v9
	v_fma_f32 v10, v0, v101, -v10
	v_fma_f32 v101, v6, v103, -v14
	v_fmac_f32_e32 v16, v33, v2
	v_fmac_f32_e32 v20, v37, v6
	v_mul_f32_e32 v6, v30, v51
	v_mul_f32_e32 v14, v36, v68
	;; [unrolled: 1-line block ×3, first 2 shown]
	v_add_f32_e32 v15, v15, v118
	v_fmac_f32_e32 v31, v32, v52
	v_fmac_f32_e32 v66, v36, v67
	s_waitcnt vmcnt(5)
	v_mul_f32_e32 v32, v23, v70
	s_waitcnt vmcnt(4)
	v_mul_f32_e32 v36, v27, v76
	v_sub_f32_e32 v121, v13, v119
	v_add_f32_e32 v35, v1, v3
	v_fma_f32 v1, -0.5, v7, v112
	v_add_f32_e32 v51, v57, v115
	v_fma_f32 v3, -0.5, v116, v112
	;; [unrolled: 2-line block ×3, first 2 shown]
	v_add_f32_e32 v9, v11, v9
	v_add_f32_e32 v103, v10, v101
	v_sub_f32_e32 v112, v10, v8
	v_sub_f32_e32 v115, v101, v82
	v_add_f32_e32 v116, v8, v82
	v_sub_f32_e32 v125, v5, v16
	v_sub_f32_e32 v126, v20, v18
	v_add_f32_e32 v128, v38, v5
	v_fma_f32 v100, v50, v100, -v6
	v_fma_f32 v104, v65, v104, -v12
	;; [unrolled: 1-line block ×3, first 2 shown]
	v_fmac_f32_e32 v53, v34, v65
	v_fmac_f32_e32 v33, v30, v50
	v_mul_f32_e32 v30, v25, v72
	v_mul_f32_e32 v34, v29, v74
	;; [unrolled: 1-line block ×6, first 2 shown]
	v_add_f32_e32 v48, v48, v15
	v_fma_f32 v109, v69, v109, -v32
	v_fma_f32 v111, v75, v111, -v36
	v_sub_f32_e32 v41, v11, v13
	v_sub_f32_e32 v42, v42, v49
	v_add_f32_e32 v57, v120, v121
	v_fma_f32 v0, -0.5, v122, v40
	v_sub_f32_e32 v11, v8, v10
	v_sub_f32_e32 v37, v82, v101
	;; [unrolled: 1-line block ×4, first 2 shown]
	s_waitcnt lgkmcnt(2)
	v_add_f32_e32 v118, v10, v113
	v_sub_f32_e32 v120, v16, v5
	v_sub_f32_e32 v121, v18, v20
	;; [unrolled: 1-line block ×3, first 2 shown]
	v_add_f32_e32 v10, v5, v20
	v_add_f32_e32 v127, v16, v18
	v_fma_f32 v81, v52, v81, -v4
	v_fmamk_f32 v5, v55, 0xbf737871, v3
	v_fmac_f32_e32 v3, 0x3f737871, v55
	v_add_f32_e32 v50, v9, v13
	v_fma_f32 v13, -0.5, v103, v113
	v_add_f32_e32 v74, v112, v115
	v_fma_f32 v15, -0.5, v116, v113
	v_add_f32_e32 v103, v125, v126
	v_add_f32_e32 v16, v16, v128
	;; [unrolled: 1-line block ×3, first 2 shown]
	s_waitcnt lgkmcnt(1)
	v_add_f32_e32 v125, v100, v114
	v_add_f32_e32 v133, v39, v33
	v_fma_f32 v107, v71, v107, -v30
	v_fma_f32 v99, v73, v99, -v34
	v_fmac_f32_e32 v65, v25, v71
	v_fmac_f32_e32 v67, v29, v73
	v_add_f32_e32 v9, v49, v48
	v_add_f32_e32 v49, v109, v111
	v_fmamk_f32 v7, v41, 0x3f737871, v1
	v_fmac_f32_e32 v1, 0xbf737871, v41
	v_fmamk_f32 v6, v123, 0xbf737871, v0
	v_fmac_f32_e32 v0, 0x3f737871, v123
	v_add_f32_e32 v52, v11, v37
	v_add_f32_e32 v37, v8, v118
	;; [unrolled: 1-line block ×3, first 2 shown]
	v_fma_f32 v12, -0.5, v10, v38
	v_fma_f32 v14, -0.5, v127, v38
	v_sub_f32_e32 v38, v81, v100
	v_sub_f32_e32 v112, v104, v102
	;; [unrolled: 1-line block ×4, first 2 shown]
	v_add_f32_e32 v121, v81, v104
	v_add_f32_e32 v128, v33, v66
	v_sub_f32_e32 v129, v81, v104
	v_fmac_f32_e32 v70, v23, v69
	v_fmac_f32_e32 v72, v27, v75
	;; [unrolled: 1-line block ×4, first 2 shown]
	v_fmamk_f32 v11, v105, 0xbf737871, v15
	v_fmac_f32_e32 v15, 0x3f737871, v105
	v_add_f32_e32 v16, v16, v18
	v_fma_f32 v34, -0.5, v115, v114
	v_add_f32_e32 v27, v81, v125
	v_add_f32_e32 v41, v31, v133
	v_sub_f32_e32 v71, v65, v67
	v_add_f32_e32 v81, v107, v99
	s_waitcnt lgkmcnt(0)
	v_fma_f32 v49, -0.5, v49, v54
	v_fmamk_f32 v4, v42, 0x3f737871, v2
	v_fmac_f32_e32 v2, 0xbf737871, v42
	v_sub_f32_e32 v116, v33, v66
	v_sub_f32_e32 v126, v31, v33
	;; [unrolled: 1-line block ×5, first 2 shown]
	v_add_f32_e32 v132, v31, v53
	v_fmac_f32_e32 v7, 0xbf167918, v55
	v_fmac_f32_e32 v1, 0x3f167918, v55
	v_fmac_f32_e32 v6, 0x3f167918, v42
	v_fmac_f32_e32 v0, 0xbf167918, v42
	v_fmamk_f32 v30, v40, 0x3f737871, v13
	v_fmac_f32_e32 v13, 0xbf737871, v40
	v_add_f32_e32 v23, v82, v37
	v_add_f32_e32 v18, v38, v112
	v_fma_f32 v38, -0.5, v121, v114
	v_fma_f32 v33, -0.5, v128, v39
	v_sub_f32_e32 v42, v107, v109
	v_sub_f32_e32 v48, v99, v111
	;; [unrolled: 1-line block ×5, first 2 shown]
	v_fmac_f32_e32 v5, 0x3e9e377a, v51
	v_fmac_f32_e32 v3, 0x3e9e377a, v51
	;; [unrolled: 1-line block ×4, first 2 shown]
	v_add_f32_e32 v31, v16, v20
	v_fmamk_f32 v40, v113, 0x3f737871, v34
	v_fmac_f32_e32 v34, 0xbf737871, v113
	v_add_f32_e32 v20, v41, v53
	v_fma_f32 v51, -0.5, v81, v54
	v_fmamk_f32 v53, v71, 0x3f737871, v49
	v_fmac_f32_e32 v49, 0xbf737871, v71
	v_sub_f32_e32 v124, v8, v82
	v_sub_f32_e32 v120, v102, v104
	;; [unrolled: 1-line block ×3, first 2 shown]
	v_fma_f32 v37, -0.5, v132, v39
	v_add_f32_e32 v82, v109, v54
	v_add_f32_e32 v112, v70, v72
	;; [unrolled: 1-line block ×3, first 2 shown]
	v_fmamk_f32 v36, v116, 0xbf737871, v38
	v_fmac_f32_e32 v38, 0x3f737871, v116
	v_add_f32_e32 v16, v104, v27
	v_fmamk_f32 v39, v129, 0xbf737871, v33
	v_fmac_f32_e32 v33, 0x3f737871, v129
	v_add_f32_e32 v23, v42, v48
	v_add_f32_e32 v27, v55, v75
	v_fmac_f32_e32 v40, 0xbf167918, v116
	v_fmac_f32_e32 v34, 0x3f167918, v116
	v_fmamk_f32 v55, v73, 0xbf737871, v51
	v_fmac_f32_e32 v51, 0x3f737871, v73
	v_fmac_f32_e32 v53, 0xbf167918, v73
	;; [unrolled: 1-line block ×3, first 2 shown]
	v_add_f32_e32 v8, v50, v119
	v_add_f32_e32 v25, v118, v120
	v_add_f32_e32 v50, v126, v127
	v_sub_f32_e32 v114, v107, v99
	v_fmac_f32_e32 v30, 0xbf167918, v105
	v_fmac_f32_e32 v13, 0x3f167918, v105
	v_fma_f32 v48, -0.5, v112, v62
	v_fmac_f32_e32 v36, 0xbf167918, v113
	v_fmac_f32_e32 v38, 0x3f167918, v113
	v_add_f32_e32 v42, v102, v16
	v_fmac_f32_e32 v39, 0x3f167918, v100
	v_fmac_f32_e32 v33, 0xbf167918, v100
	v_add_f32_e32 v41, v20, v66
	v_fmac_f32_e32 v40, 0x3e9e377a, v18
	v_fmac_f32_e32 v34, 0x3e9e377a, v18
	;; [unrolled: 1-line block ×6, first 2 shown]
	v_add_f32_e32 v16, v107, v82
	v_sub_f32_e32 v18, v65, v70
	v_sub_f32_e32 v20, v67, v72
	v_add_f32_e32 v23, v65, v67
	v_fmac_f32_e32 v30, 0x3e9e377a, v52
	v_fmac_f32_e32 v13, 0x3e9e377a, v52
	;; [unrolled: 1-line block ×7, first 2 shown]
	v_sub_f32_e32 v25, v109, v111
	v_fmamk_f32 v52, v114, 0xbf737871, v48
	v_fmac_f32_e32 v51, 0x3e9e377a, v27
	v_add_f32_e32 v16, v99, v16
	v_add_f32_e32 v18, v18, v20
	v_fmac_f32_e32 v48, 0x3f737871, v114
	v_sub_f32_e32 v20, v70, v65
	v_fma_f32 v50, -0.5, v23, v62
	v_sub_f32_e32 v27, v72, v67
	v_fmac_f32_e32 v52, 0x3f167918, v25
	v_add_f32_e32 v23, v111, v16
	v_fmac_f32_e32 v48, 0xbf167918, v25
	v_fmamk_f32 v54, v25, 0x3f737871, v50
	v_add_f32_e32 v16, v20, v27
	v_fmac_f32_e32 v50, 0xbf737871, v25
	v_add_f32_e32 v20, v62, v70
	v_add_nc_u32_e32 v25, v89, v64
	v_fmac_f32_e32 v52, 0x3e9e377a, v18
	v_fmac_f32_e32 v54, 0x3f167918, v114
	;; [unrolled: 1-line block ×4, first 2 shown]
	v_add_f32_e32 v18, v65, v20
	ds_read_b32 v20, v25
	v_fmac_f32_e32 v7, 0x3e9e377a, v35
	v_fmac_f32_e32 v1, 0x3e9e377a, v35
	v_fmamk_f32 v35, v100, 0x3f737871, v37
	v_fmac_f32_e32 v37, 0xbf737871, v100
	v_fmac_f32_e32 v54, 0x3e9e377a, v16
	s_waitcnt vmcnt(3)
	v_mul_f32_e32 v25, v22, v78
	v_fmac_f32_e32 v50, 0x3e9e377a, v16
	v_add_f32_e32 v16, v18, v67
	s_waitcnt vmcnt(2)
	v_mul_f32_e32 v18, v26, v87
	v_add_f32_e32 v69, v130, v131
	v_fmac_f32_e32 v6, 0x3e9e377a, v57
	v_fmac_f32_e32 v0, 0x3e9e377a, v57
	;; [unrolled: 1-line block ×4, first 2 shown]
	v_fma_f32 v57, v77, v108, -v25
	v_mul_f32_e32 v62, v106, v80
	v_mul_f32_e32 v67, v98, v85
	v_fma_f32 v18, v86, v110, -v18
	v_fmac_f32_e32 v4, 0x3f167918, v123
	v_fmac_f32_e32 v2, 0xbf167918, v123
	;; [unrolled: 1-line block ×4, first 2 shown]
	v_mul_f32_e32 v27, v24, v80
	v_mul_f32_e32 v25, v28, v85
	v_fmac_f32_e32 v62, v24, v79
	v_fmac_f32_e32 v67, v28, v84
	v_add_f32_e32 v24, v57, v18
	v_mul_f32_e32 v28, v108, v78
	v_mul_f32_e32 v69, v110, v87
	v_fmac_f32_e32 v4, 0x3e9e377a, v68
	v_fmac_f32_e32 v2, 0x3e9e377a, v68
	v_fma_f32 v65, v79, v106, -v27
	v_fma_f32 v68, v84, v98, -v25
	v_sub_f32_e32 v70, v62, v67
	s_waitcnt lgkmcnt(0)
	v_fma_f32 v27, -0.5, v24, v20
	v_fmac_f32_e32 v28, v22, v77
	v_fmac_f32_e32 v69, v26, v86
	v_sub_f32_e32 v24, v65, v57
	v_sub_f32_e32 v26, v68, v18
	v_add_f32_e32 v64, v65, v68
	v_fmamk_f32 v25, v70, 0x3f737871, v27
	v_sub_f32_e32 v71, v28, v69
	v_fmac_f32_e32 v27, 0xbf737871, v70
	v_add_f32_e32 v22, v16, v72
	v_add_f32_e32 v16, v24, v26
	v_fma_f32 v64, -0.5, v64, v20
	v_fmac_f32_e32 v25, 0xbf167918, v71
	v_fmac_f32_e32 v27, 0x3f167918, v71
	v_add_f32_e32 v20, v57, v20
	v_sub_f32_e32 v24, v57, v65
	v_sub_f32_e32 v26, v18, v68
	v_fmac_f32_e32 v25, 0x3e9e377a, v16
	v_fmac_f32_e32 v27, 0x3e9e377a, v16
	v_add_f32_e32 v20, v65, v20
	v_add_f32_e32 v16, v28, v69
	v_fmamk_f32 v66, v71, 0xbf737871, v64
	v_fmac_f32_e32 v64, 0x3f737871, v71
	v_add_f32_e32 v24, v24, v26
	v_add_f32_e32 v20, v68, v20
	v_fma_f32 v26, -0.5, v16, v61
	v_sub_f32_e32 v16, v65, v68
	v_add_nc_u32_e32 v68, v88, v63
	v_fmac_f32_e32 v66, 0xbf167918, v70
	v_fmac_f32_e32 v64, 0x3f167918, v70
	v_add_f32_e32 v65, v62, v67
	v_sub_f32_e32 v70, v67, v69
	ds_read_b32 v68, v68
	v_fmac_f32_e32 v66, 0x3e9e377a, v24
	v_fmac_f32_e32 v64, 0x3e9e377a, v24
	v_sub_f32_e32 v24, v62, v28
	v_sub_f32_e32 v57, v57, v18
	v_fma_f32 v63, -0.5, v65, v61
	v_sub_f32_e32 v71, v28, v62
	v_add_f32_e32 v28, v61, v28
	v_add_f32_e32 v70, v24, v70
	v_fmamk_f32 v24, v16, 0xbf737871, v26
	v_fmac_f32_e32 v26, 0x3f737871, v16
	v_fmamk_f32 v65, v57, 0x3f737871, v63
	v_fmac_f32_e32 v63, 0xbf737871, v57
	;; [unrolled: 2-line block ×3, first 2 shown]
	v_sub_f32_e32 v72, v69, v67
	v_fmac_f32_e32 v24, 0x3f167918, v57
	v_fmac_f32_e32 v26, 0xbf167918, v57
	v_fmac_f32_e32 v65, 0x3f167918, v16
	s_waitcnt vmcnt(1)
	v_mul_f32_e32 v57, v60, v91
	v_fmac_f32_e32 v63, 0xbf167918, v16
	v_add_f32_e32 v16, v62, v28
	s_waitcnt vmcnt(0)
	v_mul_f32_e32 v28, v17, v97
	v_fmac_f32_e32 v29, 0x3f167918, v122
	v_fmac_f32_e32 v12, 0xbf167918, v122
	v_add_f32_e32 v20, v18, v20
	v_add_f32_e32 v18, v71, v72
	v_mul_f32_e32 v61, v19, v93
	s_waitcnt lgkmcnt(0)
	v_fma_f32 v62, v90, v68, -v57
	v_mul_f32_e32 v71, v58, v93
	v_mul_f32_e32 v75, v43, v95
	v_fma_f32 v28, v96, v56, -v28
	v_mul_f32_e32 v57, v21, v95
	v_fmac_f32_e32 v29, 0x3e9e377a, v76
	v_fmac_f32_e32 v12, 0x3e9e377a, v76
	v_fma_f32 v58, v92, v58, -v61
	v_fmac_f32_e32 v71, v19, v92
	v_fmac_f32_e32 v75, v21, v94
	v_add_f32_e32 v19, v62, v28
	v_mul_f32_e32 v21, v68, v91
	v_mul_f32_e32 v76, v56, v97
	v_fma_f32 v43, v94, v43, -v57
	v_add_f32_e32 v16, v16, v67
	v_mul_hi_u32 v67, 0x57619f1, v83
	v_sub_f32_e32 v72, v71, v75
	v_fma_f32 v57, -0.5, v19, v117
	v_fmac_f32_e32 v21, v60, v90
	v_fmac_f32_e32 v76, v17, v96
	v_add_f32_e32 v56, v58, v43
	v_fmac_f32_e32 v65, 0x3e9e377a, v18
	v_sub_f32_e32 v17, v58, v62
	v_lshrrev_b32_e32 v67, 4, v67
	v_sub_f32_e32 v19, v43, v28
	v_fmamk_f32 v61, v72, 0x3f737871, v57
	v_sub_f32_e32 v60, v21, v76
	v_fmac_f32_e32 v63, 0x3e9e377a, v18
	v_fma_f32 v68, -0.5, v56, v117
	v_fmac_f32_e32 v57, 0xbf737871, v72
	v_sub_f32_e32 v18, v62, v58
	v_sub_f32_e32 v56, v28, v43
	v_mul_u32_u24_e32 v67, 0x2ee, v67
	v_fmac_f32_e32 v24, 0x3e9e377a, v70
	v_fmac_f32_e32 v26, 0x3e9e377a, v70
	v_add_f32_e32 v17, v17, v19
	v_fmac_f32_e32 v61, 0xbf167918, v60
	v_fmamk_f32 v70, v60, 0xbf737871, v68
	v_add_f32_e32 v19, v16, v69
	v_fmac_f32_e32 v57, 0x3f167918, v60
	v_add_f32_e32 v16, v18, v56
	v_add_f32_e32 v18, v62, v117
	v_fmac_f32_e32 v68, 0x3f737871, v60
	v_add_f32_e32 v56, v21, v76
	v_sub_nc_u32_e32 v78, v83, v67
	v_fmac_f32_e32 v61, 0x3e9e377a, v17
	v_fmac_f32_e32 v70, 0xbf167918, v72
	;; [unrolled: 1-line block ×3, first 2 shown]
	v_add_f32_e32 v17, v58, v18
	v_fmac_f32_e32 v68, 0x3f167918, v72
	v_fmac_f32_e32 v11, 0x3e9e377a, v74
	;; [unrolled: 1-line block ×3, first 2 shown]
	v_fma_f32 v56, -0.5, v56, v59
	v_sub_f32_e32 v58, v58, v43
	v_mad_u64_u32 v[73:74], null, s2, v78, 0
	v_fmac_f32_e32 v70, 0x3e9e377a, v16
	v_add_f32_e32 v17, v43, v17
	v_fmac_f32_e32 v68, 0x3e9e377a, v16
	v_add_f32_e32 v16, v71, v75
	v_sub_f32_e32 v18, v71, v21
	v_sub_f32_e32 v69, v75, v76
	;; [unrolled: 1-line block ×3, first 2 shown]
	v_fmamk_f32 v60, v58, 0xbf737871, v56
	v_fmac_f32_e32 v56, 0x3f737871, v58
	v_add_f32_e32 v72, v28, v17
	v_fma_f32 v67, -0.5, v16, v59
	v_sub_f32_e32 v17, v21, v71
	v_add_f32_e32 v21, v59, v21
	v_sub_f32_e32 v28, v76, v75
	v_mov_b32_e32 v16, v74
	v_add_f32_e32 v18, v18, v69
	v_fmac_f32_e32 v60, 0x3f167918, v62
	v_fmac_f32_e32 v56, 0xbf167918, v62
	v_fmamk_f32 v69, v62, 0x3f737871, v67
	v_add_f32_e32 v21, v71, v21
	v_fmac_f32_e32 v67, 0xbf737871, v62
	v_add_f32_e32 v28, v17, v28
	v_mad_u64_u32 v[16:17], null, s3, v78, v[16:17]
	v_fmac_f32_e32 v60, 0x3e9e377a, v18
	v_fmac_f32_e32 v56, 0x3e9e377a, v18
	v_lshlrev_b64 v[17:18], 3, v[46:47]
	v_fmac_f32_e32 v69, 0x3f167918, v58
	v_add_f32_e32 v21, v21, v75
	v_fmac_f32_e32 v67, 0xbf167918, v58
	v_add_nc_u32_e32 v58, 0x2ee, v78
	v_mov_b32_e32 v74, v16
	v_add_nc_u32_e32 v62, 0x5dc, v78
	v_add_f32_e32 v71, v21, v76
	v_add_co_u32 v21, vcc_lo, s10, v17
	v_lshlrev_b64 v[16:17], 3, v[44:45]
	v_mad_u64_u32 v[43:44], null, s2, v58, 0
	v_add_co_ci_u32_e32 v18, vcc_lo, s11, v18, vcc_lo
	v_add_nc_u32_e32 v79, 0x7d, v83
	v_mad_u64_u32 v[45:46], null, s2, v62, 0
	v_add_co_u32 v16, vcc_lo, v21, v16
	v_add_co_ci_u32_e32 v17, vcc_lo, v18, v17, vcc_lo
	v_mov_b32_e32 v18, v44
	v_mul_hi_u32 v44, 0x57619f1, v79
	v_mov_b32_e32 v21, v46
	v_lshlrev_b64 v[46:47], 3, v[73:74]
	v_fmac_f32_e32 v69, 0x3e9e377a, v28
	v_mad_u64_u32 v[58:59], null, s3, v58, v[18:19]
	v_mad_u64_u32 v[73:74], null, s3, v62, v[21:22]
	v_lshrrev_b32_e32 v59, 4, v44
	v_add_nc_u32_e32 v21, 0x8ca, v78
	v_fmac_f32_e32 v67, 0x3e9e377a, v28
	v_add_co_u32 v74, vcc_lo, v16, v46
	v_mul_u32_u24_e32 v18, 0x2ee, v59
	v_mad_u64_u32 v[76:77], null, s2, v21, 0
	v_add_co_ci_u32_e32 v75, vcc_lo, v17, v47, vcc_lo
	v_sub_nc_u32_e32 v28, v79, v18
	v_add_nc_u32_e32 v47, 0xbb8, v78
	v_mov_b32_e32 v44, v58
	global_store_dwordx2 v[74:75], v[71:72], off
	v_mov_b32_e32 v18, v77
	v_mad_u32_u24 v28, 0xea6, v59, v28
	v_mad_u64_u32 v[71:72], null, s2, v47, 0
	v_mov_b32_e32 v46, v73
	v_mad_u64_u32 v[58:59], null, s3, v21, v[18:19]
	v_mad_u64_u32 v[73:74], null, s2, v28, 0
	v_lshlrev_b64 v[43:44], 3, v[43:44]
	v_mov_b32_e32 v18, v72
	v_lshlrev_b64 v[45:46], 3, v[45:46]
	v_fmamk_f32 v10, v122, 0x3f737871, v14
	v_mov_b32_e32 v77, v58
	v_fmac_f32_e32 v14, 0xbf737871, v122
	v_mov_b32_e32 v21, v74
	v_mad_u64_u32 v[74:75], null, s3, v47, v[18:19]
	v_lshlrev_b64 v[58:59], 3, v[76:77]
	v_add_co_u32 v43, vcc_lo, v16, v43
	v_mad_u64_u32 v[75:76], null, s3, v28, v[21:22]
	v_add_nc_u32_e32 v21, 0x2ee, v28
	v_add_co_ci_u32_e32 v44, vcc_lo, v17, v44, vcc_lo
	v_add_co_u32 v45, vcc_lo, v16, v45
	v_mad_u64_u32 v[76:77], null, s2, v21, 0
	v_add_co_ci_u32_e32 v46, vcc_lo, v17, v46, vcc_lo
	v_add_co_u32 v58, vcc_lo, v16, v58
	v_add_co_ci_u32_e32 v59, vcc_lo, v17, v59, vcc_lo
	v_add_nc_u32_e32 v47, 0xfa, v83
	v_mov_b32_e32 v18, v77
	global_store_dwordx2 v[43:44], v[67:68], off
	global_store_dwordx2 v[45:46], v[56:57], off
	;; [unrolled: 1-line block ×3, first 2 shown]
	v_add_nc_u32_e32 v59, 0x5dc, v28
	v_mov_b32_e32 v72, v74
	v_mul_hi_u32 v60, 0x57619f1, v47
	v_mad_u64_u32 v[56:57], null, s3, v21, v[18:19]
	v_mad_u64_u32 v[57:58], null, s2, v59, 0
	v_mov_b32_e32 v74, v75
	v_lshlrev_b64 v[43:44], 3, v[71:72]
	v_fmac_f32_e32 v14, 0xbf167918, v124
	v_lshrrev_b32_e32 v21, 4, v60
	v_mov_b32_e32 v77, v56
	v_lshlrev_b64 v[45:46], 3, v[73:74]
	v_mov_b32_e32 v18, v58
	v_add_nc_u32_e32 v56, 0x8ca, v28
	v_add_co_u32 v43, vcc_lo, v16, v43
	v_add_co_ci_u32_e32 v44, vcc_lo, v17, v44, vcc_lo
	v_mul_u32_u24_e32 v61, 0x2ee, v21
	v_mad_u64_u32 v[58:59], null, s3, v59, v[18:19]
	v_mad_u64_u32 v[59:60], null, s2, v56, 0
	v_add_co_u32 v45, vcc_lo, v16, v45
	v_add_co_ci_u32_e32 v46, vcc_lo, v17, v46, vcc_lo
	global_store_dwordx2 v[43:44], v[69:70], off
	v_sub_nc_u32_e32 v43, v47, v61
	v_add_nc_u32_e32 v47, 0xbb8, v28
	global_store_dwordx2 v[45:46], v[19:20], off
	v_mov_b32_e32 v20, v60
	v_lshlrev_b64 v[18:19], 3, v[76:77]
	v_mad_u32_u24 v61, 0xea6, v21, v43
	v_mad_u64_u32 v[43:44], null, s2, v47, 0
	v_mad_u64_u32 v[20:21], null, s3, v56, v[20:21]
	;; [unrolled: 1-line block ×3, first 2 shown]
	v_add_co_u32 v18, vcc_lo, v16, v18
	v_mov_b32_e32 v21, v44
	v_add_co_ci_u32_e32 v19, vcc_lo, v17, v19, vcc_lo
	v_mov_b32_e32 v60, v20
	v_lshlrev_b64 v[56:57], 3, v[57:58]
	v_mad_u64_u32 v[20:21], null, s3, v47, v[21:22]
	v_mov_b32_e32 v28, v46
	v_add_nc_u32_e32 v21, 0x2ee, v61
	global_store_dwordx2 v[18:19], v[63:64], off
	v_lshlrev_b64 v[18:19], 3, v[59:60]
	v_add_co_u32 v56, vcc_lo, v16, v56
	v_mad_u64_u32 v[46:47], null, s3, v61, v[28:29]
	v_mad_u64_u32 v[58:59], null, s2, v21, 0
	v_add_co_ci_u32_e32 v57, vcc_lo, v17, v57, vcc_lo
	v_mov_b32_e32 v44, v20
	v_add_nc_u32_e32 v28, 0x5dc, v61
	v_add_nc_u32_e32 v47, 0x177, v83
	global_store_dwordx2 v[56:57], v[26:27], off
	v_mov_b32_e32 v20, v59
	v_lshlrev_b64 v[26:27], 3, v[43:44]
	v_lshlrev_b64 v[43:44], 3, v[45:46]
	v_mad_u64_u32 v[45:46], null, s2, v28, 0
	v_mad_u64_u32 v[20:21], null, s3, v21, v[20:21]
	v_add_nc_u32_e32 v62, 0x8ca, v61
	v_add_co_u32 v18, vcc_lo, v16, v18
	v_add_co_ci_u32_e32 v19, vcc_lo, v17, v19, vcc_lo
	v_mov_b32_e32 v21, v46
	v_mov_b32_e32 v59, v20
	v_add_co_u32 v26, vcc_lo, v16, v26
	v_mad_u64_u32 v[56:57], null, s2, v62, 0
	v_mad_u64_u32 v[20:21], null, s3, v28, v[21:22]
	v_mul_hi_u32 v21, 0x57619f1, v47
	v_add_co_ci_u32_e32 v27, vcc_lo, v17, v27, vcc_lo
	v_add_co_u32 v43, vcc_lo, v16, v43
	v_add_nc_u32_e32 v28, 0xbb8, v61
	v_add_co_ci_u32_e32 v44, vcc_lo, v17, v44, vcc_lo
	global_store_dwordx2 v[18:19], v[24:25], off
	global_store_dwordx2 v[26:27], v[65:66], off
	;; [unrolled: 1-line block ×3, first 2 shown]
	v_mad_u64_u32 v[60:61], null, s2, v28, 0
	v_lshrrev_b32_e32 v24, 4, v21
	v_mov_b32_e32 v21, v57
	v_mov_b32_e32 v46, v20
	v_lshlrev_b64 v[18:19], 3, v[58:59]
	v_fmac_f32_e32 v14, 0x3e9e377a, v103
	v_mul_u32_u24_e32 v25, 0x2ee, v24
	v_mad_u64_u32 v[21:22], null, s3, v62, v[21:22]
	v_mov_b32_e32 v20, v61
	v_add_co_u32 v18, vcc_lo, v16, v18
	v_add_co_ci_u32_e32 v19, vcc_lo, v17, v19, vcc_lo
	v_fmac_f32_e32 v10, 0x3f167918, v124
	v_mad_u64_u32 v[22:23], null, s3, v28, v[20:21]
	v_sub_nc_u32_e32 v20, v47, v25
	v_mov_b32_e32 v57, v21
	v_fmac_f32_e32 v10, 0x3e9e377a, v103
	v_mad_u32_u24 v28, 0xea6, v24, v20
	v_lshlrev_b64 v[23:24], 3, v[45:46]
	v_mov_b32_e32 v61, v22
	v_add_nc_u32_e32 v47, 0x2ee, v28
	v_mad_u64_u32 v[20:21], null, s2, v28, 0
	v_add_co_u32 v22, vcc_lo, v16, v23
	v_mad_u64_u32 v[43:44], null, s2, v47, 0
	v_add_co_ci_u32_e32 v23, vcc_lo, v17, v24, vcc_lo
	v_lshlrev_b64 v[24:25], 3, v[56:57]
	v_mad_u64_u32 v[45:46], null, s3, v28, v[21:22]
	v_lshlrev_b64 v[26:27], 3, v[60:61]
	v_mov_b32_e32 v21, v44
	v_add_co_u32 v24, vcc_lo, v16, v24
	v_add_co_ci_u32_e32 v25, vcc_lo, v17, v25, vcc_lo
	v_mad_u64_u32 v[46:47], null, s3, v47, v[21:22]
	v_add_co_u32 v26, vcc_lo, v16, v26
	v_add_co_ci_u32_e32 v27, vcc_lo, v17, v27, vcc_lo
	v_mov_b32_e32 v21, v45
	global_store_dwordx2 v[18:19], v[50:51], off
	global_store_dwordx2 v[22:23], v[48:49], off
	;; [unrolled: 1-line block ×4, first 2 shown]
	v_add_nc_u32_e32 v26, 0x5dc, v28
	v_mov_b32_e32 v44, v46
	v_add_nc_u32_e32 v45, 0x8ca, v28
	v_add_nc_u32_e32 v46, 0x1f4, v83
	v_lshlrev_b64 v[18:19], 3, v[20:21]
	v_mad_u64_u32 v[20:21], null, s2, v26, 0
	v_mad_u64_u32 v[22:23], null, s2, v45, 0
	v_mul_hi_u32 v27, 0x57619f1, v46
	v_lshlrev_b64 v[24:25], 3, v[43:44]
	v_add_nc_u32_e32 v47, 0xbb8, v28
	v_add_co_u32 v18, vcc_lo, v16, v18
	v_add_co_ci_u32_e32 v19, vcc_lo, v17, v19, vcc_lo
	v_lshrrev_b32_e32 v48, 4, v27
	v_mad_u64_u32 v[26:27], null, s3, v26, v[21:22]
	v_mov_b32_e32 v21, v23
	v_mad_u64_u32 v[27:28], null, s2, v47, 0
	v_add_co_u32 v23, vcc_lo, v16, v24
	v_mad_u64_u32 v[43:44], null, s3, v45, v[21:22]
	v_mov_b32_e32 v21, v26
	v_mul_u32_u24_e32 v49, 0x2ee, v48
	v_add_co_ci_u32_e32 v24, vcc_lo, v17, v25, vcc_lo
	global_store_dwordx2 v[18:19], v[41:42], off
	global_store_dwordx2 v[23:24], v[37:38], off
	v_lshlrev_b64 v[19:20], 3, v[20:21]
	v_sub_nc_u32_e32 v25, v46, v49
	v_mov_b32_e32 v18, v28
	v_mov_b32_e32 v23, v43
	v_mad_u32_u24 v41, 0xea6, v48, v25
	v_mad_u64_u32 v[24:25], null, s3, v47, v[18:19]
	v_add_co_u32 v18, vcc_lo, v16, v19
	v_mad_u64_u32 v[25:26], null, s2, v41, 0
	v_add_co_ci_u32_e32 v19, vcc_lo, v17, v20, vcc_lo
	v_lshlrev_b64 v[20:21], 3, v[22:23]
	v_add_nc_u32_e32 v42, 0x2ee, v41
	v_mov_b32_e32 v28, v24
	v_mov_b32_e32 v22, v26
	v_mad_u64_u32 v[23:24], null, s2, v42, 0
	v_add_co_u32 v20, vcc_lo, v16, v20
	v_lshlrev_b64 v[26:27], 3, v[27:28]
	v_add_co_ci_u32_e32 v21, vcc_lo, v17, v21, vcc_lo
	global_store_dwordx2 v[18:19], v[33:34], off
	global_store_dwordx2 v[20:21], v[39:40], off
	v_add_co_u32 v19, vcc_lo, v16, v26
	v_mov_b32_e32 v18, v24
	v_add_co_ci_u32_e32 v20, vcc_lo, v17, v27, vcc_lo
	v_mad_u64_u32 v[37:38], null, s3, v41, v[22:23]
	v_mad_u64_u32 v[21:22], null, s3, v42, v[18:19]
	global_store_dwordx2 v[19:20], v[35:36], off
	v_add_nc_u32_e32 v35, 0x8ca, v41
	v_add_nc_u32_e32 v33, 0x5dc, v41
	;; [unrolled: 1-line block ×3, first 2 shown]
	v_mov_b32_e32 v26, v37
	v_add_nc_u32_e32 v37, 0xbb8, v41
	v_mad_u64_u32 v[27:28], null, s2, v35, 0
	v_mov_b32_e32 v24, v21
	v_lshlrev_b64 v[18:19], 3, v[25:26]
	v_mad_u64_u32 v[25:26], null, s2, v33, 0
	v_lshlrev_b64 v[21:22], 3, v[23:24]
	v_mov_b32_e32 v23, v28
	v_add_co_u32 v18, vcc_lo, v16, v18
	v_add_co_ci_u32_e32 v19, vcc_lo, v17, v19, vcc_lo
	v_mov_b32_e32 v20, v26
	v_mad_u64_u32 v[23:24], null, s3, v35, v[23:24]
	v_mul_hi_u32 v24, 0x57619f1, v36
	global_store_dwordx2 v[18:19], v[31:32], off
	v_mad_u64_u32 v[33:34], null, s3, v33, v[20:21]
	v_mad_u64_u32 v[34:35], null, s2, v37, 0
	v_add_co_u32 v20, vcc_lo, v16, v21
	v_add_co_ci_u32_e32 v21, vcc_lo, v17, v22, vcc_lo
	v_lshrrev_b32_e32 v22, 4, v24
	v_mov_b32_e32 v26, v33
	v_mov_b32_e32 v28, v23
	global_store_dwordx2 v[20:21], v[14:15], off
	v_mov_b32_e32 v14, v35
	v_mul_u32_u24_e32 v23, 0x2ee, v22
	v_lshlrev_b64 v[18:19], 3, v[25:26]
	v_lshlrev_b64 v[20:21], 3, v[27:28]
	v_mad_u64_u32 v[14:15], null, s3, v37, v[14:15]
	v_sub_nc_u32_e32 v15, v36, v23
	v_add_co_u32 v18, vcc_lo, v16, v18
	v_add_co_ci_u32_e32 v19, vcc_lo, v17, v19, vcc_lo
	v_mad_u32_u24 v26, 0xea6, v22, v15
	v_add_co_u32 v20, vcc_lo, v16, v20
	v_add_co_ci_u32_e32 v21, vcc_lo, v17, v21, vcc_lo
	v_add_nc_u32_e32 v27, 0x5dc, v26
	v_mov_b32_e32 v35, v14
	v_mad_u64_u32 v[14:15], null, s2, v26, 0
	v_add_nc_u32_e32 v24, 0x2ee, v26
	global_store_dwordx2 v[18:19], v[12:13], off
	global_store_dwordx2 v[20:21], v[29:30], off
	v_mad_u64_u32 v[20:21], null, s2, v27, 0
	v_mad_u64_u32 v[18:19], null, s2, v24, 0
	v_lshlrev_b64 v[12:13], 3, v[34:35]
	v_mad_u64_u32 v[22:23], null, s3, v26, v[15:16]
	v_add_nc_u32_e32 v29, 0x8ca, v26
	v_mov_b32_e32 v15, v21
	v_add_nc_u32_e32 v30, 0xbb8, v26
	v_mad_u64_u32 v[23:24], null, s3, v24, v[19:20]
	v_add_co_u32 v12, vcc_lo, v16, v12
	v_mad_u64_u32 v[24:25], null, s2, v29, 0
	v_add_co_ci_u32_e32 v13, vcc_lo, v17, v13, vcc_lo
	v_mad_u64_u32 v[26:27], null, s3, v27, v[15:16]
	v_mov_b32_e32 v15, v22
	v_mad_u64_u32 v[27:28], null, s2, v30, 0
	global_store_dwordx2 v[12:13], v[10:11], off
	v_mov_b32_e32 v10, v25
	v_lshlrev_b64 v[11:12], 3, v[14:15]
	v_mov_b32_e32 v19, v23
	v_mov_b32_e32 v21, v26
	v_mad_u64_u32 v[13:14], null, s3, v29, v[10:11]
	v_mov_b32_e32 v10, v28
	v_add_co_u32 v11, vcc_lo, v16, v11
	v_lshlrev_b64 v[14:15], 3, v[18:19]
	v_add_co_ci_u32_e32 v12, vcc_lo, v17, v12, vcc_lo
	v_mad_u64_u32 v[18:19], null, s3, v30, v[10:11]
	v_mov_b32_e32 v25, v13
	v_lshlrev_b64 v[19:20], 3, v[20:21]
	v_add_co_u32 v13, vcc_lo, v16, v14
	v_add_co_ci_u32_e32 v14, vcc_lo, v17, v15, vcc_lo
	v_mov_b32_e32 v28, v18
	v_lshlrev_b64 v[21:22], 3, v[24:25]
	v_add_co_u32 v18, vcc_lo, v16, v19
	v_add_co_ci_u32_e32 v19, vcc_lo, v17, v20, vcc_lo
	v_lshlrev_b64 v[23:24], 3, v[27:28]
	v_add_co_u32 v20, vcc_lo, v16, v21
	v_add_co_ci_u32_e32 v21, vcc_lo, v17, v22, vcc_lo
	v_add_co_u32 v15, vcc_lo, v16, v23
	v_add_co_ci_u32_e32 v16, vcc_lo, v17, v24, vcc_lo
	global_store_dwordx2 v[11:12], v[8:9], off
	global_store_dwordx2 v[13:14], v[2:3], off
	;; [unrolled: 1-line block ×5, first 2 shown]
.LBB0_15:
	s_endpgm
	.section	.rodata,"a",@progbits
	.p2align	6, 0x0
	.amdhsa_kernel fft_rtc_back_len3750_factors_3_5_5_10_5_wgs_125_tpt_125_halfLds_sp_op_CI_CI_sbrr_dirReg
		.amdhsa_group_segment_fixed_size 0
		.amdhsa_private_segment_fixed_size 0
		.amdhsa_kernarg_size 104
		.amdhsa_user_sgpr_count 6
		.amdhsa_user_sgpr_private_segment_buffer 1
		.amdhsa_user_sgpr_dispatch_ptr 0
		.amdhsa_user_sgpr_queue_ptr 0
		.amdhsa_user_sgpr_kernarg_segment_ptr 1
		.amdhsa_user_sgpr_dispatch_id 0
		.amdhsa_user_sgpr_flat_scratch_init 0
		.amdhsa_user_sgpr_private_segment_size 0
		.amdhsa_wavefront_size32 1
		.amdhsa_uses_dynamic_stack 0
		.amdhsa_system_sgpr_private_segment_wavefront_offset 0
		.amdhsa_system_sgpr_workgroup_id_x 1
		.amdhsa_system_sgpr_workgroup_id_y 0
		.amdhsa_system_sgpr_workgroup_id_z 0
		.amdhsa_system_sgpr_workgroup_info 0
		.amdhsa_system_vgpr_workitem_id 0
		.amdhsa_next_free_vgpr 166
		.amdhsa_next_free_sgpr 31
		.amdhsa_reserve_vcc 1
		.amdhsa_reserve_flat_scratch 0
		.amdhsa_float_round_mode_32 0
		.amdhsa_float_round_mode_16_64 0
		.amdhsa_float_denorm_mode_32 3
		.amdhsa_float_denorm_mode_16_64 3
		.amdhsa_dx10_clamp 1
		.amdhsa_ieee_mode 1
		.amdhsa_fp16_overflow 0
		.amdhsa_workgroup_processor_mode 1
		.amdhsa_memory_ordered 1
		.amdhsa_forward_progress 0
		.amdhsa_shared_vgpr_count 0
		.amdhsa_exception_fp_ieee_invalid_op 0
		.amdhsa_exception_fp_denorm_src 0
		.amdhsa_exception_fp_ieee_div_zero 0
		.amdhsa_exception_fp_ieee_overflow 0
		.amdhsa_exception_fp_ieee_underflow 0
		.amdhsa_exception_fp_ieee_inexact 0
		.amdhsa_exception_int_div_zero 0
	.end_amdhsa_kernel
	.text
.Lfunc_end0:
	.size	fft_rtc_back_len3750_factors_3_5_5_10_5_wgs_125_tpt_125_halfLds_sp_op_CI_CI_sbrr_dirReg, .Lfunc_end0-fft_rtc_back_len3750_factors_3_5_5_10_5_wgs_125_tpt_125_halfLds_sp_op_CI_CI_sbrr_dirReg
                                        ; -- End function
	.section	.AMDGPU.csdata,"",@progbits
; Kernel info:
; codeLenInByte = 21876
; NumSgprs: 33
; NumVgprs: 166
; ScratchSize: 0
; MemoryBound: 0
; FloatMode: 240
; IeeeMode: 1
; LDSByteSize: 0 bytes/workgroup (compile time only)
; SGPRBlocks: 4
; VGPRBlocks: 20
; NumSGPRsForWavesPerEU: 33
; NumVGPRsForWavesPerEU: 166
; Occupancy: 5
; WaveLimiterHint : 1
; COMPUTE_PGM_RSRC2:SCRATCH_EN: 0
; COMPUTE_PGM_RSRC2:USER_SGPR: 6
; COMPUTE_PGM_RSRC2:TRAP_HANDLER: 0
; COMPUTE_PGM_RSRC2:TGID_X_EN: 1
; COMPUTE_PGM_RSRC2:TGID_Y_EN: 0
; COMPUTE_PGM_RSRC2:TGID_Z_EN: 0
; COMPUTE_PGM_RSRC2:TIDIG_COMP_CNT: 0
	.text
	.p2alignl 6, 3214868480
	.fill 48, 4, 3214868480
	.type	__hip_cuid_ede331c8eaf6865b,@object ; @__hip_cuid_ede331c8eaf6865b
	.section	.bss,"aw",@nobits
	.globl	__hip_cuid_ede331c8eaf6865b
__hip_cuid_ede331c8eaf6865b:
	.byte	0                               ; 0x0
	.size	__hip_cuid_ede331c8eaf6865b, 1

	.ident	"AMD clang version 19.0.0git (https://github.com/RadeonOpenCompute/llvm-project roc-6.4.0 25133 c7fe45cf4b819c5991fe208aaa96edf142730f1d)"
	.section	".note.GNU-stack","",@progbits
	.addrsig
	.addrsig_sym __hip_cuid_ede331c8eaf6865b
	.amdgpu_metadata
---
amdhsa.kernels:
  - .args:
      - .actual_access:  read_only
        .address_space:  global
        .offset:         0
        .size:           8
        .value_kind:     global_buffer
      - .offset:         8
        .size:           8
        .value_kind:     by_value
      - .actual_access:  read_only
        .address_space:  global
        .offset:         16
        .size:           8
        .value_kind:     global_buffer
      - .actual_access:  read_only
        .address_space:  global
        .offset:         24
        .size:           8
        .value_kind:     global_buffer
      - .actual_access:  read_only
        .address_space:  global
        .offset:         32
        .size:           8
        .value_kind:     global_buffer
      - .offset:         40
        .size:           8
        .value_kind:     by_value
      - .actual_access:  read_only
        .address_space:  global
        .offset:         48
        .size:           8
        .value_kind:     global_buffer
      - .actual_access:  read_only
        .address_space:  global
        .offset:         56
        .size:           8
        .value_kind:     global_buffer
      - .offset:         64
        .size:           4
        .value_kind:     by_value
      - .actual_access:  read_only
        .address_space:  global
        .offset:         72
        .size:           8
        .value_kind:     global_buffer
      - .actual_access:  read_only
        .address_space:  global
        .offset:         80
        .size:           8
        .value_kind:     global_buffer
      - .actual_access:  read_only
        .address_space:  global
        .offset:         88
        .size:           8
        .value_kind:     global_buffer
      - .actual_access:  write_only
        .address_space:  global
        .offset:         96
        .size:           8
        .value_kind:     global_buffer
    .group_segment_fixed_size: 0
    .kernarg_segment_align: 8
    .kernarg_segment_size: 104
    .language:       OpenCL C
    .language_version:
      - 2
      - 0
    .max_flat_workgroup_size: 125
    .name:           fft_rtc_back_len3750_factors_3_5_5_10_5_wgs_125_tpt_125_halfLds_sp_op_CI_CI_sbrr_dirReg
    .private_segment_fixed_size: 0
    .sgpr_count:     33
    .sgpr_spill_count: 0
    .symbol:         fft_rtc_back_len3750_factors_3_5_5_10_5_wgs_125_tpt_125_halfLds_sp_op_CI_CI_sbrr_dirReg.kd
    .uniform_work_group_size: 1
    .uses_dynamic_stack: false
    .vgpr_count:     166
    .vgpr_spill_count: 0
    .wavefront_size: 32
    .workgroup_processor_mode: 1
amdhsa.target:   amdgcn-amd-amdhsa--gfx1030
amdhsa.version:
  - 1
  - 2
...

	.end_amdgpu_metadata
